;; amdgpu-corpus repo=ROCm/rocFFT kind=compiled arch=gfx1201 opt=O3
	.text
	.amdgcn_target "amdgcn-amd-amdhsa--gfx1201"
	.amdhsa_code_object_version 6
	.protected	bluestein_single_fwd_len1750_dim1_dp_op_CI_CI ; -- Begin function bluestein_single_fwd_len1750_dim1_dp_op_CI_CI
	.globl	bluestein_single_fwd_len1750_dim1_dp_op_CI_CI
	.p2align	8
	.type	bluestein_single_fwd_len1750_dim1_dp_op_CI_CI,@function
bluestein_single_fwd_len1750_dim1_dp_op_CI_CI: ; @bluestein_single_fwd_len1750_dim1_dp_op_CI_CI
; %bb.0:
	s_load_b128 s[16:19], s[0:1], 0x28
	v_mul_u32_u24_e32 v1, 0x177, v0
	s_mov_b32 s2, exec_lo
	v_mov_b32_e32 v5, 0
	s_delay_alu instid0(VALU_DEP_2) | instskip(NEXT) | instid1(VALU_DEP_1)
	v_lshrrev_b32_e32 v1, 16, v1
	v_add_nc_u32_e32 v4, ttmp9, v1
	s_wait_kmcnt 0x0
	s_delay_alu instid0(VALU_DEP_1)
	v_cmpx_gt_u64_e64 s[16:17], v[4:5]
	s_cbranch_execz .LBB0_10
; %bb.1:
	s_clause 0x1
	s_load_b128 s[4:7], s[0:1], 0x18
	s_load_b128 s[8:11], s[0:1], 0x0
	v_mul_lo_u16 v1, 0xaf, v1
	s_mov_b32 s17, 0xbfe2cf23
	s_load_b64 s[0:1], s[0:1], 0x38
	s_delay_alu instid0(VALU_DEP_1) | instskip(NEXT) | instid1(VALU_DEP_1)
	v_sub_nc_u16 v96, v0, v1
	v_and_b32_e32 v255, 0xffff, v96
	s_delay_alu instid0(VALU_DEP_1)
	v_dual_mov_b32 v5, v4 :: v_dual_lshlrev_b32 v204, 4, v255
	scratch_store_b64 off, v[5:6], off      ; 8-byte Folded Spill
	v_add_co_u32 v180, null, 0xaf, v255
	s_wait_kmcnt 0x0
	s_load_b128 s[12:15], s[4:5], 0x0
	s_movk_i32 s4, 0xd440
	s_mov_b32 s5, -1
	s_clause 0x7
	global_load_b128 v[12:15], v204, s[8:9] offset:14000
	global_load_b128 v[16:19], v204, s[8:9]
	global_load_b128 v[20:23], v204, s[8:9] offset:2800
	global_load_b128 v[109:112], v204, s[8:9] offset:16800
	;; [unrolled: 1-line block ×6, first 2 shown]
	v_lshlrev_b32_e32 v181, 5, v255
	s_wait_kmcnt 0x0
	v_mad_co_u64_u32 v[0:1], null, s14, v4, 0
	v_mad_co_u64_u32 v[2:3], null, s12, v255, 0
	s_mul_u64 s[2:3], s[12:13], 0x36b0
	s_mul_u64 s[4:5], s[12:13], s[4:5]
	s_delay_alu instid0(VALU_DEP_1) | instskip(SKIP_4) | instid1(VALU_DEP_1)
	v_mad_co_u64_u32 v[4:5], null, s15, v4, v[1:2]
	s_mov_b32 s14, 0x4755a5e
	s_mov_b32 s15, 0x3fe2cf23
	s_wait_alu 0xfffe
	s_mov_b32 s16, s14
	v_mad_co_u64_u32 v[5:6], null, s13, v255, v[3:4]
	v_mov_b32_e32 v1, v4
	s_mov_b32 s13, 0xbfee6f0e
	s_delay_alu instid0(VALU_DEP_1) | instskip(NEXT) | instid1(VALU_DEP_3)
	v_lshlrev_b64_e32 v[0:1], 4, v[0:1]
	v_mov_b32_e32 v3, v5
	s_delay_alu instid0(VALU_DEP_2) | instskip(NEXT) | instid1(VALU_DEP_2)
	v_add_co_u32 v0, vcc_lo, s18, v0
	v_lshlrev_b64_e32 v[2:3], 4, v[2:3]
	s_delay_alu instid0(VALU_DEP_4) | instskip(SKIP_2) | instid1(VALU_DEP_2)
	v_add_co_ci_u32_e32 v1, vcc_lo, s19, v1, vcc_lo
	s_mov_b32 s18, 0x372fe950
	s_mov_b32 s19, 0x3fd3c6ef
	v_add_co_u32 v0, vcc_lo, v0, v2
	s_wait_alu 0xfffd
	v_add_co_ci_u32_e32 v1, vcc_lo, v1, v3, vcc_lo
	s_delay_alu instid0(VALU_DEP_2) | instskip(SKIP_1) | instid1(VALU_DEP_2)
	v_add_co_u32 v2, vcc_lo, v0, s2
	s_wait_alu 0xfffd
	v_add_co_ci_u32_e32 v3, vcc_lo, s3, v1, vcc_lo
	s_clause 0x1
	global_load_b128 v[40:43], v[0:1], off
	global_load_b128 v[44:47], v[2:3], off
	v_add_co_u32 v4, vcc_lo, v2, s4
	s_wait_alu 0xfffd
	v_add_co_ci_u32_e32 v5, vcc_lo, s5, v3, vcc_lo
	s_delay_alu instid0(VALU_DEP_2) | instskip(SKIP_1) | instid1(VALU_DEP_2)
	v_add_co_u32 v6, vcc_lo, v4, s2
	s_wait_alu 0xfffd
	v_add_co_ci_u32_e32 v7, vcc_lo, s3, v5, vcc_lo
	s_clause 0x1
	global_load_b128 v[48:51], v[4:5], off
	global_load_b128 v[52:55], v[6:7], off
	v_add_co_u32 v8, vcc_lo, v6, s4
	s_wait_alu 0xfffd
	v_add_co_ci_u32_e32 v9, vcc_lo, s5, v7, vcc_lo
	s_delay_alu instid0(VALU_DEP_2) | instskip(SKIP_1) | instid1(VALU_DEP_2)
	v_add_co_u32 v0, vcc_lo, v8, s2
	s_wait_alu 0xfffd
	v_add_co_ci_u32_e32 v1, vcc_lo, s3, v9, vcc_lo
	global_load_b128 v[56:59], v[8:9], off
	v_add_co_u32 v2, vcc_lo, v0, s4
	s_wait_alu 0xfffd
	v_add_co_ci_u32_e32 v3, vcc_lo, s5, v1, vcc_lo
	global_load_b128 v[60:63], v[0:1], off
	;; [unrolled: 4-line block ×3, first 2 shown]
	v_add_co_u32 v0, vcc_lo, v4, s4
	s_wait_alu 0xfffd
	v_add_co_ci_u32_e32 v1, vcc_lo, s5, v5, vcc_lo
	s_delay_alu instid0(VALU_DEP_2) | instskip(SKIP_1) | instid1(VALU_DEP_2)
	v_add_co_u32 v2, vcc_lo, v0, s2
	s_wait_alu 0xfffd
	v_add_co_ci_u32_e32 v3, vcc_lo, s3, v1, vcc_lo
	global_load_b128 v[68:71], v[4:5], off
	global_load_b128 v[32:35], v204, s[8:9] offset:11200
	global_load_b128 v[72:75], v[0:1], off
	global_load_b128 v[36:39], v204, s[8:9] offset:25200
	global_load_b128 v[76:79], v[2:3], off
	s_load_b128 s[4:7], s[6:7], 0x0
	s_mov_b32 s2, 0x134454ff
	s_mov_b32 s3, 0x3fee6f0e
	s_wait_alu 0xfffe
	s_mov_b32 s12, s2
	v_cmp_gt_u16_e32 vcc_lo, 0x4b, v96
	s_wait_loadcnt 0x13
	scratch_store_b128 off, v[12:15], off offset:8 ; 16-byte Folded Spill
	s_wait_loadcnt 0x12
	scratch_store_b128 off, v[16:19], off offset:24 ; 16-byte Folded Spill
	;; [unrolled: 2-line block ×4, first 2 shown]
	s_wait_loadcnt 0xe
	s_clause 0x1
	scratch_store_b128 off, v[117:120], off offset:88
	scratch_store_b128 off, v[113:116], off offset:72
	s_wait_loadcnt 0xb
	v_mul_f64_e32 v[0:1], v[42:43], v[18:19]
	v_mul_f64_e32 v[2:3], v[40:41], v[18:19]
	s_wait_loadcnt 0xa
	v_mul_f64_e32 v[4:5], v[46:47], v[14:15]
	v_mul_f64_e32 v[6:7], v[44:45], v[14:15]
	;; [unrolled: 3-line block ×7, first 2 shown]
	v_fma_f64 v[40:41], v[40:41], v[16:17], v[0:1]
	s_wait_loadcnt 0x4
	v_mul_f64_e32 v[97:98], v[70:71], v[30:31]
	v_mul_f64_e32 v[99:100], v[68:69], v[30:31]
	s_wait_loadcnt 0x2
	v_mul_f64_e32 v[101:102], v[74:75], v[34:35]
	v_mul_f64_e32 v[103:104], v[72:73], v[34:35]
	;; [unrolled: 3-line block ×3, first 2 shown]
	v_fma_f64 v[42:43], v[42:43], v[16:17], -v[2:3]
	v_fma_f64 v[44:45], v[44:45], v[12:13], v[4:5]
	v_fma_f64 v[46:47], v[46:47], v[12:13], -v[6:7]
	v_lshlrev_b16 v0, 1, v96
	v_lshlrev_b32_e32 v1, 5, v180
	v_fma_f64 v[48:49], v[48:49], v[20:21], v[8:9]
	v_fma_f64 v[50:51], v[50:51], v[20:21], -v[10:11]
	v_fma_f64 v[52:53], v[52:53], v[109:110], v[80:81]
	v_fma_f64 v[54:55], v[54:55], v[109:110], -v[82:83]
	v_and_b32_e32 v0, 0xffff, v0
	v_and_b32_e32 v12, 0xff, v96
	;; [unrolled: 1-line block ×3, first 2 shown]
	s_delay_alu instid0(VALU_DEP_3) | instskip(NEXT) | instid1(VALU_DEP_3)
	v_lshlrev_b32_e32 v2, 4, v0
	v_mul_lo_u16 v12, 0xcd, v12
	v_fma_f64 v[56:57], v[56:57], v[117:118], v[84:85]
	v_fma_f64 v[58:59], v[58:59], v[117:118], -v[86:87]
	v_mul_u32_u24_e32 v13, 0xcccd, v13
	s_delay_alu instid0(VALU_DEP_4) | instskip(SKIP_2) | instid1(VALU_DEP_4)
	v_lshrrev_b16 v12, 11, v12
	v_fma_f64 v[60:61], v[60:61], v[113:114], v[88:89]
	v_fma_f64 v[62:63], v[62:63], v[113:114], -v[90:91]
	v_lshrrev_b32_e32 v13, 19, v13
	v_fma_f64 v[64:65], v[64:65], v[24:25], v[92:93]
	v_fma_f64 v[66:67], v[66:67], v[24:25], -v[94:95]
	v_fma_f64 v[68:69], v[68:69], v[28:29], v[97:98]
	v_fma_f64 v[70:71], v[70:71], v[28:29], -v[99:100]
	;; [unrolled: 2-line block ×4, first 2 shown]
	ds_store_b128 v204, v[40:43]
	ds_store_b128 v204, v[48:51] offset:2800
	ds_store_b128 v204, v[52:55] offset:16800
	;; [unrolled: 1-line block ×9, first 2 shown]
	global_wb scope:SCOPE_SE
	s_wait_storecnt_dscnt 0x0
	s_wait_kmcnt 0x0
	s_barrier_signal -1
	s_barrier_wait -1
	global_inv scope:SCOPE_SE
	ds_load_b128 v[40:43], v204 offset:14000
	ds_load_b128 v[44:47], v204
	ds_load_b128 v[48:51], v204 offset:2800
	ds_load_b128 v[52:55], v204 offset:16800
	;; [unrolled: 1-line block ×8, first 2 shown]
	global_wb scope:SCOPE_SE
	s_wait_dscnt 0x0
	s_barrier_signal -1
	s_barrier_wait -1
	global_inv scope:SCOPE_SE
	scratch_store_b32 off, v2, off offset:116 ; 4-byte Folded Spill
	v_add_f64_e64 v[80:81], v[44:45], -v[40:41]
	v_add_f64_e64 v[82:83], v[46:47], -v[42:43]
	;; [unrolled: 1-line block ×10, first 2 shown]
	v_and_b32_e32 v40, 1, v255
	v_and_b32_e32 v41, 1, v180
	s_delay_alu instid0(VALU_DEP_2)
	v_lshlrev_b32_e32 v0, 6, v40
	v_fma_f64 v[42:43], v[44:45], 2.0, -v[80:81]
	v_fma_f64 v[44:45], v[46:47], 2.0, -v[82:83]
	;; [unrolled: 1-line block ×10, first 2 shown]
	ds_store_b128 v2, v[42:45]
	ds_store_b128 v2, v[80:83] offset:16
	ds_store_b128 v1, v[46:49]
	scratch_store_b32 off, v1, off offset:112 ; 4-byte Folded Spill
	ds_store_b128 v1, v[52:55] offset:16
	ds_store_b128 v181, v[60:63] offset:11200
	;; [unrolled: 1-line block ×7, first 2 shown]
	global_wb scope:SCOPE_SE
	s_wait_storecnt_dscnt 0x0
	s_barrier_signal -1
	s_barrier_wait -1
	global_inv scope:SCOPE_SE
	s_clause 0x2
	global_load_b128 v[128:131], v0, s[10:11]
	global_load_b128 v[120:123], v0, s[10:11] offset:16
	global_load_b128 v[112:115], v0, s[10:11] offset:32
	v_lshlrev_b32_e32 v1, 6, v41
	s_clause 0x4
	global_load_b128 v[100:103], v0, s[10:11] offset:48
	global_load_b128 v[108:111], v1, s[10:11]
	global_load_b128 v[124:127], v1, s[10:11] offset:16
	global_load_b128 v[116:119], v1, s[10:11] offset:32
	;; [unrolled: 1-line block ×3, first 2 shown]
	ds_load_b128 v[42:45], v204 offset:5600
	ds_load_b128 v[46:49], v204 offset:11200
	;; [unrolled: 1-line block ×8, first 2 shown]
	s_wait_loadcnt_dscnt 0x707
	v_mul_f64_e32 v[0:1], v[44:45], v[130:131]
	s_wait_loadcnt_dscnt 0x606
	v_mul_f64_e32 v[2:3], v[48:49], v[122:123]
	s_wait_loadcnt_dscnt 0x505
	v_mul_f64_e32 v[4:5], v[52:53], v[114:115]
	v_mul_f64_e32 v[10:11], v[46:47], v[122:123]
	v_mul_f64_e32 v[74:75], v[50:51], v[114:115]
	v_mul_f64_e32 v[6:7], v[42:43], v[130:131]
	s_wait_loadcnt_dscnt 0x404
	v_mul_f64_e32 v[8:9], v[56:57], v[102:103]
	v_mul_f64_e32 v[76:77], v[54:55], v[102:103]
	s_wait_loadcnt_dscnt 0x303
	v_mul_f64_e32 v[78:79], v[60:61], v[110:111]
	s_wait_loadcnt_dscnt 0x202
	;; [unrolled: 2-line block ×3, first 2 shown]
	v_mul_f64_e32 v[82:83], v[68:69], v[118:119]
	v_mul_f64_e32 v[84:85], v[62:63], v[126:127]
	;; [unrolled: 1-line block ×3, first 2 shown]
	s_wait_loadcnt_dscnt 0x0
	v_mul_f64_e32 v[86:87], v[72:73], v[106:107]
	v_mul_f64_e32 v[90:91], v[58:59], v[110:111]
	;; [unrolled: 1-line block ×3, first 2 shown]
	v_fma_f64 v[0:1], v[42:43], v[128:129], -v[0:1]
	v_fma_f64 v[2:3], v[46:47], v[120:121], -v[2:3]
	;; [unrolled: 1-line block ×3, first 2 shown]
	v_fma_f64 v[10:11], v[48:49], v[120:121], v[10:11]
	v_fma_f64 v[50:51], v[52:53], v[112:113], v[74:75]
	;; [unrolled: 1-line block ×3, first 2 shown]
	v_fma_f64 v[8:9], v[54:55], v[100:101], -v[8:9]
	v_fma_f64 v[52:53], v[56:57], v[100:101], v[76:77]
	v_fma_f64 v[54:55], v[58:59], v[108:109], -v[78:79]
	v_fma_f64 v[56:57], v[62:63], v[124:125], -v[80:81]
	;; [unrolled: 1-line block ×3, first 2 shown]
	v_fma_f64 v[62:63], v[64:65], v[124:125], v[84:85]
	v_fma_f64 v[66:67], v[68:69], v[116:117], v[88:89]
	v_fma_f64 v[64:65], v[70:71], v[104:105], -v[86:87]
	v_fma_f64 v[60:61], v[60:61], v[108:109], v[90:91]
	v_fma_f64 v[68:69], v[72:73], v[104:105], v[92:93]
	ds_load_b128 v[42:45], v204
	ds_load_b128 v[46:49], v204 offset:2800
	global_wb scope:SCOPE_SE
	s_wait_dscnt 0x0
	s_barrier_signal -1
	s_barrier_wait -1
	global_inv scope:SCOPE_SE
	v_add_f64_e32 v[86:87], v[42:43], v[0:1]
	v_add_f64_e32 v[70:71], v[2:3], v[4:5]
	;; [unrolled: 1-line block ×6, first 2 shown]
	v_add_f64_e64 v[88:89], v[6:7], -v[52:53]
	v_add_f64_e32 v[94:95], v[46:47], v[54:55]
	v_add_f64_e32 v[78:79], v[56:57], v[58:59]
	v_add_f64_e64 v[132:133], v[0:1], -v[8:9]
	v_add_f64_e32 v[82:83], v[62:63], v[66:67]
	v_add_f64_e32 v[80:81], v[54:55], v[64:65]
	;; [unrolled: 1-line block ×4, first 2 shown]
	v_add_f64_e64 v[90:91], v[10:11], -v[50:51]
	v_add_f64_e64 v[134:135], v[60:61], -v[68:69]
	;; [unrolled: 1-line block ×17, first 2 shown]
	v_fma_f64 v[70:71], v[70:71], -0.5, v[42:43]
	v_fma_f64 v[74:75], v[74:75], -0.5, v[44:45]
	v_add_f64_e32 v[10:11], v[92:93], v[10:11]
	v_fma_f64 v[42:43], v[72:73], -0.5, v[42:43]
	v_add_f64_e64 v[72:73], v[2:3], -v[4:5]
	v_fma_f64 v[44:45], v[76:77], -0.5, v[44:45]
	v_add_f64_e64 v[76:77], v[62:63], -v[66:67]
	v_fma_f64 v[78:79], v[78:79], -0.5, v[46:47]
	v_fma_f64 v[82:83], v[82:83], -0.5, v[48:49]
	;; [unrolled: 1-line block ×3, first 2 shown]
	v_add_f64_e64 v[80:81], v[56:57], -v[58:59]
	v_fma_f64 v[48:49], v[84:85], -0.5, v[48:49]
	v_add_f64_e64 v[84:85], v[0:1], -v[2:3]
	v_add_f64_e64 v[0:1], v[2:3], -v[0:1]
	v_add_f64_e32 v[2:3], v[86:87], v[2:3]
	v_add_f64_e32 v[56:57], v[94:95], v[56:57]
	;; [unrolled: 1-line block ×5, first 2 shown]
	v_fma_f64 v[86:87], v[88:89], s[2:3], v[70:71]
	s_wait_alu 0xfffe
	v_fma_f64 v[70:71], v[88:89], s[12:13], v[70:71]
	v_fma_f64 v[94:95], v[132:133], s[12:13], v[74:75]
	;; [unrolled: 1-line block ×15, first 2 shown]
	v_add_f64_e32 v[2:3], v[2:3], v[4:5]
	v_add_f64_e32 v[4:5], v[10:11], v[50:51]
	;; [unrolled: 1-line block ×10, first 2 shown]
	v_fma_f64 v[54:55], v[90:91], s[14:15], v[86:87]
	v_fma_f64 v[56:57], v[90:91], s[16:17], v[70:71]
	;; [unrolled: 1-line block ×16, first 2 shown]
	v_add_f64_e32 v[42:43], v[2:3], v[8:9]
	v_add_f64_e32 v[44:45], v[4:5], v[52:53]
	v_mul_lo_u16 v2, v12, 10
	v_mul_lo_u16 v3, v13, 10
	v_add_f64_e32 v[48:49], v[50:51], v[68:69]
	v_add_f64_e32 v[46:47], v[10:11], v[64:65]
	s_delay_alu instid0(VALU_DEP_4) | instskip(NEXT) | instid1(VALU_DEP_4)
	v_sub_nc_u16 v2, v96, v2
	v_sub_nc_u16 v14, v180, v3
	s_delay_alu instid0(VALU_DEP_2) | instskip(NEXT) | instid1(VALU_DEP_2)
	v_and_b32_e32 v15, 0xff, v2
	v_lshlrev_b16 v2, 6, v14
	s_delay_alu instid0(VALU_DEP_2)
	v_lshlrev_b32_e32 v3, 6, v15
	v_fma_f64 v[50:51], v[84:85], s[18:19], v[54:55]
	v_fma_f64 v[54:55], v[84:85], s[18:19], v[56:57]
	;; [unrolled: 1-line block ×16, first 2 shown]
	v_lshrrev_b32_e32 v0, 1, v255
	v_lshrrev_b32_e32 v1, 1, v180
	s_delay_alu instid0(VALU_DEP_2) | instskip(NEXT) | instid1(VALU_DEP_2)
	v_mul_u32_u24_e32 v0, 10, v0
	v_mul_u32_u24_e32 v1, 10, v1
	s_delay_alu instid0(VALU_DEP_2) | instskip(NEXT) | instid1(VALU_DEP_2)
	v_or_b32_e32 v0, v0, v40
	v_or_b32_e32 v1, v1, v41
	s_delay_alu instid0(VALU_DEP_2) | instskip(SKIP_1) | instid1(VALU_DEP_3)
	v_lshlrev_b32_e32 v212, 4, v0
	v_and_b32_e32 v0, 0xffff, v2
	v_lshlrev_b32_e32 v209, 4, v1
	ds_store_b128 v212, v[42:45]
	ds_store_b128 v212, v[50:53] offset:32
	ds_store_b128 v212, v[58:61] offset:64
	;; [unrolled: 1-line block ×4, first 2 shown]
	ds_store_b128 v209, v[46:49]
	ds_store_b128 v209, v[66:69] offset:32
	ds_store_b128 v209, v[74:77] offset:64
	;; [unrolled: 1-line block ×4, first 2 shown]
	v_add_co_u32 v0, s20, s10, v0
	global_wb scope:SCOPE_SE
	s_wait_dscnt 0x0
	s_barrier_signal -1
	s_barrier_wait -1
	global_inv scope:SCOPE_SE
	s_clause 0x2
	global_load_b128 v[68:71], v3, s[10:11] offset:160
	global_load_b128 v[80:83], v3, s[10:11] offset:144
	;; [unrolled: 1-line block ×3, first 2 shown]
	v_add_co_ci_u32_e64 v1, null, s11, 0, s20
	s_clause 0x4
	global_load_b128 v[64:67], v3, s[10:11] offset:176
	global_load_b128 v[76:79], v[0:1], off offset:128
	global_load_b128 v[88:91], v[0:1], off offset:144
	;; [unrolled: 1-line block ×4, first 2 shown]
	ds_load_b128 v[40:43], v204 offset:5600
	ds_load_b128 v[44:47], v204 offset:11200
	;; [unrolled: 1-line block ×8, first 2 shown]
	s_wait_loadcnt_dscnt 0x705
	v_mul_f64_e32 v[4:5], v[50:51], v[70:71]
	s_wait_loadcnt 0x6
	v_mul_f64_e32 v[2:3], v[46:47], v[82:83]
	s_wait_loadcnt 0x5
	v_mul_f64_e32 v[0:1], v[42:43], v[94:95]
	s_wait_loadcnt_dscnt 0x404
	v_mul_f64_e32 v[8:9], v[54:55], v[66:67]
	v_mul_f64_e32 v[10:11], v[44:45], v[82:83]
	;; [unrolled: 1-line block ×5, first 2 shown]
	s_wait_loadcnt_dscnt 0x303
	v_mul_f64_e32 v[142:143], v[58:59], v[78:79]
	s_wait_loadcnt_dscnt 0x202
	v_mul_f64_e32 v[144:145], v[62:63], v[90:91]
	;; [unrolled: 2-line block ×3, first 2 shown]
	v_mul_f64_e32 v[148:149], v[60:61], v[90:91]
	v_mul_f64_e32 v[152:153], v[132:133], v[86:87]
	s_wait_loadcnt_dscnt 0x0
	v_mul_f64_e32 v[150:151], v[138:139], v[74:75]
	v_mul_f64_e32 v[154:155], v[56:57], v[78:79]
	;; [unrolled: 1-line block ×3, first 2 shown]
	v_fma_f64 v[4:5], v[48:49], v[68:69], -v[4:5]
	v_fma_f64 v[2:3], v[44:45], v[80:81], -v[2:3]
	;; [unrolled: 1-line block ×4, first 2 shown]
	v_fma_f64 v[10:11], v[46:47], v[80:81], v[10:11]
	v_fma_f64 v[48:49], v[50:51], v[68:69], v[97:98]
	;; [unrolled: 1-line block ×4, first 2 shown]
	v_fma_f64 v[52:53], v[56:57], v[76:77], -v[142:143]
	v_fma_f64 v[54:55], v[60:61], v[88:89], -v[144:145]
	;; [unrolled: 1-line block ×3, first 2 shown]
	v_fma_f64 v[60:61], v[62:63], v[88:89], v[148:149]
	v_fma_f64 v[97:98], v[134:135], v[84:85], v[152:153]
	v_fma_f64 v[62:63], v[136:137], v[72:73], -v[150:151]
	v_fma_f64 v[58:59], v[58:59], v[76:77], v[154:155]
	v_fma_f64 v[132:133], v[138:139], v[72:73], v[156:157]
	ds_load_b128 v[40:43], v204
	ds_load_b128 v[44:47], v204 offset:2800
	global_wb scope:SCOPE_SE
	s_wait_dscnt 0x0
	s_barrier_signal -1
	s_barrier_wait -1
	global_inv scope:SCOPE_SE
	v_add_f64_e32 v[134:135], v[2:3], v[4:5]
	v_add_f64_e32 v[150:151], v[40:41], v[0:1]
	;; [unrolled: 1-line block ×3, first 2 shown]
	v_add_f64_e64 v[162:163], v[0:1], -v[8:9]
	v_add_f64_e32 v[138:139], v[10:11], v[48:49]
	v_add_f64_e32 v[156:157], v[42:43], v[6:7]
	;; [unrolled: 1-line block ×3, first 2 shown]
	v_add_f64_e64 v[152:153], v[6:7], -v[50:51]
	v_add_f64_e64 v[154:155], v[10:11], -v[48:49]
	v_add_f64_e32 v[142:143], v[54:55], v[56:57]
	v_add_f64_e32 v[158:159], v[44:45], v[52:53]
	;; [unrolled: 1-line block ×6, first 2 shown]
	v_add_f64_e64 v[164:165], v[58:59], -v[132:133]
	v_add_f64_e64 v[166:167], v[52:53], -v[62:63]
	;; [unrolled: 1-line block ×16, first 2 shown]
	v_fma_f64 v[134:135], v[134:135], -0.5, v[40:41]
	v_fma_f64 v[40:41], v[136:137], -0.5, v[40:41]
	v_add_f64_e64 v[136:137], v[2:3], -v[4:5]
	v_fma_f64 v[138:139], v[138:139], -0.5, v[42:43]
	v_add_f64_e32 v[10:11], v[156:157], v[10:11]
	v_fma_f64 v[42:43], v[140:141], -0.5, v[42:43]
	v_add_f64_e64 v[140:141], v[60:61], -v[97:98]
	v_fma_f64 v[142:143], v[142:143], -0.5, v[44:45]
	v_fma_f64 v[146:147], v[146:147], -0.5, v[46:47]
	;; [unrolled: 1-line block ×3, first 2 shown]
	v_add_f64_e64 v[144:145], v[54:55], -v[56:57]
	v_fma_f64 v[46:47], v[148:149], -0.5, v[46:47]
	v_add_f64_e64 v[148:149], v[0:1], -v[2:3]
	v_add_f64_e64 v[0:1], v[2:3], -v[0:1]
	v_add_f64_e32 v[2:3], v[150:151], v[2:3]
	v_add_f64_e32 v[54:55], v[158:159], v[54:55]
	;; [unrolled: 1-line block ×5, first 2 shown]
	v_fma_f64 v[150:151], v[152:153], s[2:3], v[134:135]
	v_fma_f64 v[134:135], v[152:153], s[12:13], v[134:135]
	;; [unrolled: 1-line block ×16, first 2 shown]
	v_add_f64_e32 v[2:3], v[2:3], v[4:5]
	v_add_f64_e32 v[4:5], v[10:11], v[48:49]
	;; [unrolled: 1-line block ×10, first 2 shown]
	v_add_co_u32 v201, s2, s8, v204
	s_wait_alu 0xf1ff
	v_add_co_ci_u32_e64 v202, null, s9, 0, s2
	v_fma_f64 v[52:53], v[154:155], s[14:15], v[150:151]
	v_fma_f64 v[54:55], v[154:155], s[16:17], v[134:135]
	;; [unrolled: 1-line block ×16, first 2 shown]
	v_add_f64_e32 v[40:41], v[2:3], v[8:9]
	v_add_f64_e32 v[42:43], v[4:5], v[50:51]
	;; [unrolled: 1-line block ×4, first 2 shown]
	v_fma_f64 v[56:57], v[148:149], s[18:19], v[52:53]
	v_fma_f64 v[60:61], v[148:149], s[18:19], v[54:55]
	;; [unrolled: 1-line block ×8, first 2 shown]
	v_and_b32_e32 v0, 0xffff, v12
	v_fma_f64 v[140:141], v[170:171], s[18:19], v[154:155]
	v_fma_f64 v[52:53], v[170:171], s[18:19], v[142:143]
	;; [unrolled: 1-line block ×8, first 2 shown]
	v_mad_u16 v1, v13, 50, v14
	v_mul_u32_u24_e32 v0, 50, v0
                                        ; implicit-def: $vgpr160_vgpr161
                                        ; implicit-def: $vgpr164_vgpr165
                                        ; implicit-def: $vgpr168_vgpr169
                                        ; implicit-def: $vgpr172_vgpr173
	s_delay_alu instid0(VALU_DEP_2) | instskip(NEXT) | instid1(VALU_DEP_2)
	v_and_b32_e32 v1, 0xffff, v1
	v_add_lshl_u32 v208, v0, v15, 4
	s_delay_alu instid0(VALU_DEP_2)
	v_lshlrev_b32_e32 v207, 4, v1
	ds_store_b128 v208, v[40:43]
	ds_store_b128 v208, v[56:59] offset:160
	ds_store_b128 v208, v[132:135] offset:320
	;; [unrolled: 1-line block ×4, first 2 shown]
	ds_store_b128 v207, v[44:47]
	ds_store_b128 v207, v[140:143] offset:160
	ds_store_b128 v207, v[152:155] offset:320
	;; [unrolled: 1-line block ×4, first 2 shown]
	global_wb scope:SCOPE_SE
	s_wait_dscnt 0x0
	s_barrier_signal -1
	s_barrier_wait -1
	global_inv scope:SCOPE_SE
	ds_load_b128 v[156:159], v204
	ds_load_b128 v[140:143], v204 offset:4000
	ds_load_b128 v[136:139], v204 offset:8000
	;; [unrolled: 1-line block ×6, first 2 shown]
	s_and_saveexec_b32 s2, vcc_lo
	s_cbranch_execz .LBB0_3
; %bb.2:
	ds_load_b128 v[152:155], v204 offset:2800
	ds_load_b128 v[48:51], v204 offset:6800
	;; [unrolled: 1-line block ×7, first 2 shown]
.LBB0_3:
	s_wait_alu 0xfffe
	s_or_b32 exec_lo, exec_lo, s2
	v_and_b32_e32 v0, 0xff, v255
	v_lshrrev_b16 v12, 1, v180
	s_mov_b32 s26, 0xe976ee23
	s_mov_b32 s27, 0xbfe11646
	;; [unrolled: 1-line block ×3, first 2 shown]
	v_mul_lo_u16 v0, v0, 41
	v_and_b32_e32 v12, 0xffff, v12
	s_mov_b32 s14, 0x429ad128
	s_mov_b32 s25, 0xbff2aaaa
	;; [unrolled: 1-line block ×3, first 2 shown]
	v_lshrrev_b16 v176, 11, v0
	v_mul_u32_u24_e32 v12, 0x147b, v12
	s_mov_b32 s28, 0x5476071b
	s_mov_b32 s12, 0x37c3f68c
	;; [unrolled: 1-line block ×3, first 2 shown]
	v_mul_lo_u16 v0, v176, 50
	v_lshrrev_b32_e32 v12, 17, v12
	s_mov_b32 s13, 0x3fdc38aa
	s_mov_b32 s16, 0x37e14327
	;; [unrolled: 1-line block ×3, first 2 shown]
	v_sub_nc_u16 v0, v255, v0
	s_mov_b32 s20, 0xb247c609
	s_mov_b32 s19, 0xbfe77f67
	;; [unrolled: 1-line block ×4, first 2 shown]
	v_and_b32_e32 v177, 0xff, v0
	s_wait_alu 0xfffe
	s_mov_b32 s22, s20
	s_mov_b32 s18, s28
	s_delay_alu instid0(VALU_DEP_1)
	v_mad_co_u64_u32 v[0:1], null, 0x60, v177, s[10:11]
	s_clause 0x1
	global_load_b128 v[96:99], v[0:1], off offset:768
	global_load_b128 v[132:135], v[0:1], off offset:784
	s_wait_loadcnt_dscnt 0x105
	v_mul_f64_e32 v[2:3], v[142:143], v[98:99]
	v_mul_f64_e32 v[4:5], v[140:141], v[98:99]
	s_wait_loadcnt_dscnt 0x4
	v_mul_f64_e32 v[6:7], v[138:139], v[134:135]
	v_mul_f64_e32 v[8:9], v[136:137], v[134:135]
	s_delay_alu instid0(VALU_DEP_4) | instskip(NEXT) | instid1(VALU_DEP_4)
	v_fma_f64 v[2:3], v[140:141], v[96:97], -v[2:3]
	v_fma_f64 v[4:5], v[142:143], v[96:97], v[4:5]
	s_delay_alu instid0(VALU_DEP_4) | instskip(NEXT) | instid1(VALU_DEP_4)
	v_fma_f64 v[6:7], v[136:137], v[132:133], -v[6:7]
	v_fma_f64 v[8:9], v[138:139], v[132:133], v[8:9]
	s_clause 0x3
	global_load_b128 v[136:139], v[0:1], off offset:848
	global_load_b128 v[140:143], v[0:1], off offset:832
	;; [unrolled: 1-line block ×4, first 2 shown]
	scratch_store_b32 off, v12, off offset:104 ; 4-byte Folded Spill
	v_mul_lo_u16 v12, v12, 50
	s_delay_alu instid0(VALU_DEP_1) | instskip(SKIP_2) | instid1(VALU_DEP_1)
	v_sub_nc_u16 v12, v180, v12
	scratch_store_b32 off, v12, off offset:108 ; 4-byte Folded Spill
	v_mul_lo_u16 v12, 0x60, v12
	v_and_b32_e32 v12, 0xffff, v12
	s_wait_loadcnt_dscnt 0x300
	v_mul_f64_e32 v[10:11], v[62:63], v[138:139]
	s_wait_loadcnt 0x1
	v_mul_f64_e32 v[0:1], v[46:47], v[146:147]
	s_delay_alu instid0(VALU_DEP_2) | instskip(NEXT) | instid1(VALU_DEP_2)
	v_fma_f64 v[10:11], v[60:61], v[136:137], -v[10:11]
	v_fma_f64 v[0:1], v[44:45], v[144:145], -v[0:1]
	v_mul_f64_e32 v[44:45], v[44:45], v[146:147]
	v_mul_f64_e32 v[60:61], v[60:61], v[138:139]
	s_delay_alu instid0(VALU_DEP_2) | instskip(SKIP_2) | instid1(VALU_DEP_3)
	v_fma_f64 v[186:187], v[46:47], v[144:145], v[44:45]
	s_wait_loadcnt 0x0
	v_mul_f64_e32 v[44:45], v[42:43], v[150:151]
	v_fma_f64 v[178:179], v[62:63], v[136:137], v[60:61]
	v_mul_f64_e32 v[60:61], v[58:59], v[142:143]
	s_delay_alu instid0(VALU_DEP_3) | instskip(SKIP_1) | instid1(VALU_DEP_3)
	v_fma_f64 v[188:189], v[40:41], v[148:149], -v[44:45]
	v_mul_f64_e32 v[40:41], v[40:41], v[150:151]
	v_fma_f64 v[182:183], v[56:57], v[140:141], -v[60:61]
	v_add_co_u32 v60, s2, s10, v12
	s_wait_alu 0xf1ff
	v_add_co_ci_u32_e64 v61, null, s11, 0, s2
	v_mul_f64_e32 v[56:57], v[56:57], v[142:143]
	v_add_f64_e32 v[194:195], v[4:5], v[178:179]
	v_add_f64_e64 v[4:5], v[4:5], -v[178:179]
	s_mov_b32 s2, 0x36b3c0b5
	s_mov_b32 s3, 0x3fac98ee
	v_and_b32_e32 v12, 0xffff, v176
	s_delay_alu instid0(VALU_DEP_1)
	v_mul_u32_u24_e32 v12, 0x15e, v12
	v_add_f64_e32 v[192:193], v[0:1], v[188:189]
	v_fma_f64 v[190:191], v[42:43], v[148:149], v[40:41]
	s_clause 0x1
	global_load_b128 v[40:43], v[60:61], off offset:768
	global_load_b128 v[44:47], v[60:61], off offset:784
	v_add_f64_e64 v[0:1], v[188:189], -v[0:1]
	v_fma_f64 v[184:185], v[58:59], v[140:141], v[56:57]
	v_add_f64_e32 v[196:197], v[186:187], v[190:191]
	s_wait_loadcnt 0x1
	v_mul_f64_e32 v[56:57], v[50:51], v[42:43]
	s_delay_alu instid0(VALU_DEP_1) | instskip(SKIP_1) | instid1(VALU_DEP_1)
	v_fma_f64 v[198:199], v[48:49], v[40:41], -v[56:57]
	v_mul_f64_e32 v[48:49], v[48:49], v[42:43]
	v_fma_f64 v[213:214], v[50:51], v[40:41], v[48:49]
	s_wait_loadcnt 0x0
	v_mul_f64_e32 v[48:49], v[54:55], v[46:47]
	s_delay_alu instid0(VALU_DEP_1) | instskip(SKIP_1) | instid1(VALU_DEP_1)
	v_fma_f64 v[215:216], v[52:53], v[44:45], -v[48:49]
	v_mul_f64_e32 v[48:49], v[52:53], v[46:47]
	v_fma_f64 v[217:218], v[54:55], v[44:45], v[48:49]
	s_clause 0x1
	global_load_b128 v[48:51], v[60:61], off offset:848
	global_load_b128 v[52:55], v[60:61], off offset:832
	s_wait_loadcnt 0x1
	v_mul_f64_e32 v[56:57], v[174:175], v[50:51]
	s_delay_alu instid0(VALU_DEP_1) | instskip(SKIP_3) | instid1(VALU_DEP_4)
	v_fma_f64 v[219:220], v[172:173], v[48:49], -v[56:57]
	v_mul_f64_e32 v[56:57], v[172:173], v[50:51]
	v_add_f64_e32 v[172:173], v[8:9], v[184:185]
	v_add_f64_e64 v[8:9], v[8:9], -v[184:185]
	v_add_f64_e32 v[233:234], v[198:199], v[219:220]
	s_delay_alu instid0(VALU_DEP_4) | instskip(SKIP_4) | instid1(VALU_DEP_4)
	v_fma_f64 v[221:222], v[174:175], v[48:49], v[56:57]
	s_wait_loadcnt 0x0
	v_mul_f64_e32 v[56:57], v[170:171], v[54:55]
	v_add_f64_e64 v[245:246], v[196:197], -v[172:173]
	v_add_f64_e64 v[247:248], v[172:173], -v[194:195]
	v_add_f64_e32 v[237:238], v[213:214], v[221:222]
	s_delay_alu instid0(VALU_DEP_4) | instskip(SKIP_1) | instid1(VALU_DEP_1)
	v_fma_f64 v[223:224], v[168:169], v[52:53], -v[56:57]
	v_mul_f64_e32 v[56:57], v[168:169], v[54:55]
	v_fma_f64 v[225:226], v[170:171], v[52:53], v[56:57]
	s_clause 0x1
	global_load_b128 v[56:59], v[60:61], off offset:800
	global_load_b128 v[60:63], v[60:61], off offset:816
	global_wb scope:SCOPE_SE
	s_wait_loadcnt 0x0
	s_wait_storecnt 0x0
	s_barrier_signal -1
	s_barrier_wait -1
	global_inv scope:SCOPE_SE
	v_add_f64_e32 v[239:240], v[217:218], v[225:226]
	s_delay_alu instid0(VALU_DEP_1) | instskip(SKIP_1) | instid1(VALU_DEP_1)
	v_add_f64_e32 v[243:244], v[239:240], v[237:238]
	v_mul_f64_e32 v[168:169], v[162:163], v[58:59]
	v_fma_f64 v[227:228], v[160:161], v[56:57], -v[168:169]
	v_mul_f64_e32 v[160:161], v[160:161], v[58:59]
	v_add_f64_e32 v[168:169], v[6:7], v[182:183]
	v_add_f64_e64 v[6:7], v[6:7], -v[182:183]
	s_delay_alu instid0(VALU_DEP_3) | instskip(SKIP_1) | instid1(VALU_DEP_3)
	v_fma_f64 v[229:230], v[162:163], v[56:57], v[160:161]
	v_mul_f64_e32 v[160:161], v[166:167], v[62:63]
	v_add_f64_e64 v[178:179], v[0:1], -v[6:7]
	s_delay_alu instid0(VALU_DEP_2) | instskip(SKIP_1) | instid1(VALU_DEP_3)
	v_fma_f64 v[231:232], v[164:165], v[60:61], -v[160:161]
	v_mul_f64_e32 v[160:161], v[164:165], v[62:63]
	v_mul_f64_e32 v[178:179], s[26:27], v[178:179]
	s_delay_alu instid0(VALU_DEP_3) | instskip(NEXT) | instid1(VALU_DEP_3)
	v_add_f64_e32 v[235:236], v[227:228], v[231:232]
	v_fma_f64 v[164:165], v[166:167], v[60:61], v[160:161]
	v_add_f64_e32 v[166:167], v[2:3], v[10:11]
	v_add_f64_e64 v[2:3], v[2:3], -v[10:11]
	v_add_f64_e64 v[10:11], v[190:191], -v[186:187]
	;; [unrolled: 1-line block ×4, first 2 shown]
	v_add_f64_e32 v[241:242], v[229:230], v[164:165]
	v_add_f64_e32 v[160:161], v[168:169], v[166:167]
	v_add_f64_e64 v[182:183], v[6:7], -v[2:3]
	v_add_f64_e32 v[6:7], v[0:1], v[6:7]
	v_add_f64_e64 v[184:185], v[10:11], -v[8:9]
	;; [unrolled: 2-line block ×3, first 2 shown]
	s_wait_alu 0xfffe
	v_mul_f64_e32 v[168:169], s[2:3], v[190:191]
	v_add_f64_e64 v[166:167], v[166:167], -v[192:193]
	v_add_f64_e64 v[0:1], v[2:3], -v[0:1]
	v_add_f64_e32 v[243:244], v[241:242], v[243:244]
	v_add_f64_e32 v[170:171], v[192:193], v[160:161]
	;; [unrolled: 1-line block ×4, first 2 shown]
	v_mul_f64_e32 v[249:250], s[26:27], v[184:185]
	v_add_f64_e32 v[8:9], v[8:9], v[4:5]
	v_mul_f64_e32 v[172:173], s[2:3], v[245:246]
	v_fma_f64 v[168:169], v[188:189], s[28:29], -v[168:169]
	v_add_f64_e64 v[2:3], v[4:5], -v[10:11]
	v_mul_f64_e32 v[4:5], s[14:15], v[182:183]
	v_mul_f64_e32 v[10:11], s[14:15], v[186:187]
	;; [unrolled: 1-line block ×3, first 2 shown]
	v_add_f64_e32 v[154:155], v[154:155], v[243:244]
	v_add_f64_e32 v[174:175], v[196:197], v[160:161]
	;; [unrolled: 1-line block ×4, first 2 shown]
	v_fma_f64 v[172:173], v[247:248], s[28:29], -v[172:173]
	v_fma_f64 v[4:5], v[0:1], s[22:23], -v[4:5]
	v_fma_f64 v[10:11], v[2:3], s[22:23], -v[10:11]
	v_fma_f64 v[0:1], v[0:1], s[20:21], v[178:179]
	v_fma_f64 v[2:3], v[2:3], s[20:21], v[249:250]
	v_add_f64_e32 v[162:163], v[158:159], v[174:175]
	v_fma_f64 v[251:252], v[170:171], s[24:25], v[160:161]
	v_fma_f64 v[170:171], v[182:183], s[14:15], -v[178:179]
	v_fma_f64 v[182:183], v[188:189], s[18:19], -v[166:167]
	v_add_f64_e32 v[158:159], v[156:157], v[233:234]
	v_fma_f64 v[4:5], v[6:7], s[12:13], v[4:5]
	v_fma_f64 v[10:11], v[8:9], s[12:13], v[10:11]
	;; [unrolled: 1-line block ×5, first 2 shown]
	v_add_f64_e32 v[205:206], v[168:169], v[251:252]
	v_fma_f64 v[174:175], v[6:7], s[12:13], v[170:171]
	v_fma_f64 v[170:171], v[186:187], s[14:15], -v[249:250]
	v_add_f64_e32 v[186:187], v[182:183], v[251:252]
	v_add_f64_e32 v[158:159], v[235:236], v[158:159]
	;; [unrolled: 1-line block ×3, first 2 shown]
	s_delay_alu instid0(VALU_DEP_4) | instskip(NEXT) | instid1(VALU_DEP_4)
	v_fma_f64 v[184:185], v[8:9], s[12:13], v[170:171]
	v_add_f64_e32 v[182:183], v[10:11], v[186:187]
	v_add_f64_e64 v[186:187], v[186:187], -v[10:11]
	v_add_f64_e64 v[8:9], v[164:165], -v[229:230]
	v_add_f64_e32 v[152:153], v[152:153], v[158:159]
	v_add_f64_e32 v[170:171], v[174:175], v[253:254]
	v_add_f64_e64 v[174:175], v[253:254], -v[174:175]
	v_add_f64_e64 v[168:169], v[205:206], -v[184:185]
	v_add_f64_e32 v[172:173], v[184:185], v[205:206]
	v_add_f64_e64 v[184:185], v[194:195], -v[196:197]
	v_add_f64_e64 v[205:206], v[235:236], -v[156:157]
	s_delay_alu instid0(VALU_DEP_2) | instskip(NEXT) | instid1(VALU_DEP_1)
	v_mul_f64_e32 v[192:193], s[16:17], v[184:185]
	v_fma_f64 v[184:185], v[247:248], s[18:19], -v[192:193]
	v_fma_f64 v[10:11], v[245:246], s[2:3], v[192:193]
	s_delay_alu instid0(VALU_DEP_2) | instskip(NEXT) | instid1(VALU_DEP_2)
	v_add_f64_e32 v[188:189], v[184:185], v[210:211]
	v_add_f64_e32 v[6:7], v[10:11], v[210:211]
	v_add_f64_e64 v[10:11], v[213:214], -v[221:222]
	v_add_lshl_u32 v213, v12, v177, 4
	v_add_f64_e64 v[210:211], v[156:157], -v[233:234]
	v_mul_f64_e32 v[156:157], s[2:3], v[205:206]
	v_add_f64_e64 v[184:185], v[188:189], -v[4:5]
	v_add_f64_e32 v[188:189], v[4:5], v[188:189]
	v_fma_f64 v[4:5], v[190:191], s[2:3], v[166:167]
	v_add_f64_e64 v[192:193], v[6:7], -v[0:1]
	v_add_f64_e32 v[196:197], v[0:1], v[6:7]
	v_add_f64_e64 v[0:1], v[215:216], -v[223:224]
	v_add_f64_e64 v[6:7], v[217:218], -v[225:226]
	;; [unrolled: 1-line block ×4, first 2 shown]
	v_fma_f64 v[222:223], v[158:159], s[24:25], v[152:153]
	v_fma_f64 v[156:157], v[210:211], s[28:29], -v[156:157]
	v_fma_f64 v[224:225], v[243:244], s[24:25], v[154:155]
	v_add_f64_e32 v[4:5], v[4:5], v[251:252]
	v_add_f64_e64 v[166:167], v[8:9], -v[6:7]
	s_delay_alu instid0(VALU_DEP_2)
	v_add_f64_e32 v[190:191], v[2:3], v[4:5]
	v_add_f64_e64 v[194:195], v[4:5], -v[2:3]
	v_add_f64_e64 v[2:3], v[231:232], -v[227:228]
	;; [unrolled: 1-line block ×4, first 2 shown]
	v_add_f64_e32 v[6:7], v[8:9], v[6:7]
	v_mul_f64_e32 v[220:221], s[26:27], v[166:167]
	v_add_f64_e32 v[228:229], v[156:157], v[222:223]
	ds_store_b128 v213, v[160:163]
	ds_store_b128 v213, v[190:193] offset:800
	ds_store_b128 v213, v[182:185] offset:1600
	;; [unrolled: 1-line block ×6, first 2 shown]
	v_add_f64_e64 v[160:161], v[233:234], -v[235:236]
	v_add_f64_e64 v[162:163], v[237:238], -v[241:242]
	;; [unrolled: 1-line block ×4, first 2 shown]
	v_add_f64_e32 v[0:1], v[2:3], v[0:1]
	v_add_f64_e64 v[2:3], v[4:5], -v[2:3]
	v_add_f64_e32 v[6:7], v[6:7], v[10:11]
	v_mul_f64_e32 v[218:219], s[26:27], v[164:165]
	v_mul_f64_e32 v[164:165], s[2:3], v[214:215]
	v_add_f64_e32 v[0:1], v[0:1], v[4:5]
	v_add_f64_e64 v[4:5], v[10:11], -v[8:9]
	v_mul_f64_e32 v[8:9], s[14:15], v[178:179]
	v_fma_f64 v[10:11], v[2:3], s[20:21], v[218:219]
	v_fma_f64 v[158:159], v[178:179], s[14:15], -v[218:219]
	v_fma_f64 v[164:165], v[216:217], s[28:29], -v[164:165]
	v_fma_f64 v[168:169], v[4:5], s[20:21], v[220:221]
	v_fma_f64 v[2:3], v[2:3], s[22:23], -v[8:9]
	v_mul_f64_e32 v[8:9], s[14:15], v[198:199]
	v_fma_f64 v[170:171], v[0:1], s[12:13], v[10:11]
	v_fma_f64 v[166:167], v[0:1], s[12:13], v[158:159]
	v_fma_f64 v[158:159], v[198:199], s[14:15], -v[220:221]
	v_add_f64_e32 v[230:231], v[164:165], v[224:225]
	v_fma_f64 v[176:177], v[0:1], s[12:13], v[2:3]
	v_fma_f64 v[4:5], v[4:5], s[22:23], -v[8:9]
	v_mul_f64_e32 v[8:9], s[16:17], v[160:161]
	v_mul_f64_e32 v[160:161], s[16:17], v[162:163]
	v_add_nc_u32_e32 v0, 0x41a0, v181
	scratch_store_b32 off, v0, off offset:124 ; 4-byte Folded Spill
	v_add_nc_u32_e32 v0, 0x5780, v181
	scratch_store_b32 off, v0, off offset:120 ; 4-byte Folded Spill
	v_fma_f64 v[226:227], v[6:7], s[12:13], v[158:159]
	v_add_f64_e32 v[158:159], v[166:167], v[230:231]
	v_add_f64_e64 v[166:167], v[230:231], -v[166:167]
	v_fma_f64 v[162:163], v[6:7], s[12:13], v[4:5]
	v_fma_f64 v[172:173], v[210:211], s[18:19], -v[8:9]
	v_fma_f64 v[8:9], v[205:206], s[2:3], v[8:9]
	v_fma_f64 v[174:175], v[216:217], s[18:19], -v[160:161]
	v_fma_f64 v[182:183], v[214:215], s[2:3], v[160:161]
	v_fma_f64 v[160:161], v[6:7], s[12:13], v[168:169]
	v_add_nc_u32_e32 v216, 0x2bc0, v181
	v_add_f64_e64 v[156:157], v[228:229], -v[226:227]
	v_add_f64_e32 v[164:165], v[226:227], v[228:229]
	v_add_f64_e32 v[168:169], v[172:173], v[222:223]
	;; [unrolled: 1-line block ×5, first 2 shown]
	s_delay_alu instid0(VALU_DEP_4) | instskip(NEXT) | instid1(VALU_DEP_4)
	v_add_f64_e64 v[192:193], v[168:169], -v[162:163]
	v_add_f64_e64 v[196:197], v[172:173], -v[160:161]
	s_delay_alu instid0(VALU_DEP_4) | instskip(NEXT) | instid1(VALU_DEP_4)
	v_add_f64_e32 v[194:195], v[176:177], v[178:179]
	v_add_f64_e32 v[198:199], v[170:171], v[174:175]
	s_and_saveexec_b32 s2, vcc_lo
	s_cbranch_execz .LBB0_5
; %bb.4:
	s_clause 0x1
	scratch_load_b32 v0, off, off offset:104
	scratch_load_b32 v1, off, off offset:108
	v_add_f64_e64 v[183:184], v[174:175], -v[170:171]
	v_add_f64_e32 v[181:182], v[160:161], v[172:173]
	v_add_f64_e64 v[176:177], v[178:179], -v[176:177]
	v_add_f64_e32 v[174:175], v[162:163], v[168:169]
	s_wait_loadcnt 0x0
	v_mad_u16 v0, 0x15e, v0, v1
	s_delay_alu instid0(VALU_DEP_1) | instskip(NEXT) | instid1(VALU_DEP_1)
	v_and_b32_e32 v0, 0xffff, v0
	v_lshlrev_b32_e32 v0, 4, v0
	ds_store_b128 v0, v[164:167] offset:3200
	ds_store_b128 v0, v[192:195] offset:4000
	ds_store_b128 v0, v[152:155]
	ds_store_b128 v0, v[181:184] offset:800
	ds_store_b128 v0, v[174:177] offset:1600
	;; [unrolled: 1-line block ×4, first 2 shown]
.LBB0_5:
	s_wait_alu 0xfffe
	s_or_b32 exec_lo, exec_lo, s2
	v_lshlrev_b32_e32 v8, 6, v255
	global_wb scope:SCOPE_SE
	s_wait_storecnt_dscnt 0x0
	s_barrier_signal -1
	s_barrier_wait -1
	global_inv scope:SCOPE_SE
	s_clause 0x1
	global_load_b128 v[152:155], v8, s[10:11] offset:5568
	global_load_b128 v[160:163], v8, s[10:11] offset:5584
	ds_load_b128 v[168:171], v204 offset:5600
	ds_load_b128 v[217:220], v204 offset:8400
	v_lshlrev_b32_e32 v12, 6, v180
	s_mov_b32 s12, 0x134454ff
	s_mov_b32 s13, 0x3fee6f0e
	;; [unrolled: 1-line block ×3, first 2 shown]
	s_wait_alu 0xfffe
	s_mov_b32 s14, s12
	s_mov_b32 s2, 0x4755a5e
	;; [unrolled: 1-line block ×5, first 2 shown]
	s_add_nc_u64 s[8:9], s[8:9], 0x6d60
	s_wait_loadcnt_dscnt 0x101
	v_mul_f64_e32 v[0:1], v[170:171], v[154:155]
	v_mul_f64_e32 v[2:3], v[168:169], v[154:155]
	s_delay_alu instid0(VALU_DEP_2) | instskip(NEXT) | instid1(VALU_DEP_2)
	v_fma_f64 v[0:1], v[168:169], v[152:153], -v[0:1]
	v_fma_f64 v[2:3], v[170:171], v[152:153], v[2:3]
	ds_load_b128 v[168:171], v204 offset:11200
	ds_load_b128 v[184:187], v204 offset:14000
	s_wait_loadcnt_dscnt 0x1
	v_mul_f64_e32 v[4:5], v[170:171], v[162:163]
	v_mul_f64_e32 v[6:7], v[168:169], v[162:163]
	s_delay_alu instid0(VALU_DEP_2) | instskip(NEXT) | instid1(VALU_DEP_2)
	v_fma_f64 v[4:5], v[168:169], v[160:161], -v[4:5]
	v_fma_f64 v[6:7], v[170:171], v[160:161], v[6:7]
	s_clause 0x1
	global_load_b128 v[172:175], v8, s[10:11] offset:5600
	global_load_b128 v[168:171], v8, s[10:11] offset:5616
	ds_load_b128 v[176:179], v204 offset:16800
	ds_load_b128 v[221:224], v204 offset:19600
	s_wait_loadcnt_dscnt 0x101
	v_mul_f64_e32 v[8:9], v[178:179], v[174:175]
	v_mul_f64_e32 v[10:11], v[176:177], v[174:175]
	s_delay_alu instid0(VALU_DEP_2) | instskip(NEXT) | instid1(VALU_DEP_2)
	v_fma_f64 v[8:9], v[176:177], v[172:173], -v[8:9]
	v_fma_f64 v[10:11], v[178:179], v[172:173], v[10:11]
	ds_load_b128 v[176:179], v204 offset:22400
	ds_load_b128 v[225:228], v204 offset:25200
	s_wait_loadcnt_dscnt 0x1
	v_mul_f64_e32 v[181:182], v[178:179], v[170:171]
	v_add_f64_e64 v[243:244], v[4:5], -v[8:9]
	v_add_f64_e64 v[239:240], v[6:7], -v[10:11]
	s_delay_alu instid0(VALU_DEP_3) | instskip(SKIP_1) | instid1(VALU_DEP_2)
	v_fma_f64 v[205:206], v[176:177], v[168:169], -v[181:182]
	v_mul_f64_e32 v[176:177], v[176:177], v[170:171]
	v_add_f64_e64 v[241:242], v[0:1], -v[205:206]
	s_delay_alu instid0(VALU_DEP_2)
	v_fma_f64 v[210:211], v[178:179], v[168:169], v[176:177]
	s_clause 0x1
	global_load_b128 v[180:183], v12, s[10:11] offset:5584
	global_load_b128 v[176:179], v12, s[10:11] offset:5568
	v_add_f64_e64 v[237:238], v[2:3], -v[210:211]
	s_wait_loadcnt 0x1
	v_mul_f64_e32 v[188:189], v[186:187], v[182:183]
	s_wait_loadcnt 0x0
	v_mul_f64_e32 v[14:15], v[217:218], v[178:179]
	s_delay_alu instid0(VALU_DEP_2) | instskip(SKIP_1) | instid1(VALU_DEP_3)
	v_fma_f64 v[249:250], v[184:185], v[180:181], -v[188:189]
	v_mul_f64_e32 v[184:185], v[184:185], v[182:183]
	v_fma_f64 v[14:15], v[219:220], v[176:177], v[14:15]
	s_delay_alu instid0(VALU_DEP_2)
	v_fma_f64 v[251:252], v[186:187], v[180:181], v[184:185]
	s_clause 0x1
	global_load_b128 v[188:191], v12, s[10:11] offset:5600
	global_load_b128 v[184:187], v12, s[10:11] offset:5616
	s_mov_b32 s11, 0xbfe2cf23
	s_wait_alu 0xfffe
	s_mov_b32 s10, s2
	s_wait_loadcnt 0x1
	v_mul_f64_e32 v[229:230], v[223:224], v[190:191]
	s_wait_loadcnt_dscnt 0x0
	v_mul_f64_e32 v[18:19], v[225:226], v[186:187]
	s_delay_alu instid0(VALU_DEP_2) | instskip(SKIP_1) | instid1(VALU_DEP_3)
	v_fma_f64 v[253:254], v[221:222], v[188:189], -v[229:230]
	v_mul_f64_e32 v[221:222], v[221:222], v[190:191]
	v_fma_f64 v[18:19], v[227:228], v[184:185], v[18:19]
	s_delay_alu instid0(VALU_DEP_2) | instskip(SKIP_2) | instid1(VALU_DEP_2)
	v_fma_f64 v[214:215], v[223:224], v[188:189], v[221:222]
	v_mul_f64_e32 v[221:222], v[219:220], v[178:179]
	v_add_f64_e64 v[219:220], v[205:206], -v[8:9]
	v_fma_f64 v[12:13], v[217:218], v[176:177], -v[221:222]
	v_mul_f64_e32 v[217:218], v[227:228], v[186:187]
	s_delay_alu instid0(VALU_DEP_1) | instskip(SKIP_2) | instid1(VALU_DEP_3)
	v_fma_f64 v[16:17], v[225:226], v[184:185], -v[217:218]
	v_add_f64_e64 v[217:218], v[0:1], -v[4:5]
	v_add_f64_e32 v[225:226], v[4:5], v[8:9]
	v_add_f64_e64 v[20:21], v[12:13], -v[16:17]
	s_delay_alu instid0(VALU_DEP_3) | instskip(SKIP_2) | instid1(VALU_DEP_1)
	v_add_f64_e32 v[229:230], v[217:218], v[219:220]
	v_add_f64_e64 v[217:218], v[2:3], -v[6:7]
	v_add_f64_e64 v[219:220], v[210:211], -v[10:11]
	v_add_f64_e32 v[231:232], v[217:218], v[219:220]
	ds_load_b128 v[217:220], v204
	ds_load_b128 v[221:224], v204 offset:2800
	s_wait_dscnt 0x1
	v_fma_f64 v[233:234], v[225:226], -0.5, v[217:218]
	v_add_f64_e32 v[225:226], v[6:7], v[10:11]
	s_delay_alu instid0(VALU_DEP_1) | instskip(NEXT) | instid1(VALU_DEP_3)
	v_fma_f64 v[235:236], v[225:226], -0.5, v[219:220]
	v_fma_f64 v[225:226], v[237:238], s[12:13], v[233:234]
	v_fma_f64 v[233:234], v[237:238], s[14:15], v[233:234]
	s_delay_alu instid0(VALU_DEP_3) | instskip(SKIP_1) | instid1(VALU_DEP_4)
	v_fma_f64 v[227:228], v[241:242], s[14:15], v[235:236]
	v_fma_f64 v[235:236], v[241:242], s[12:13], v[235:236]
	;; [unrolled: 1-line block ×3, first 2 shown]
	s_wait_alu 0xfffe
	s_delay_alu instid0(VALU_DEP_4) | instskip(NEXT) | instid1(VALU_DEP_4)
	v_fma_f64 v[233:234], v[239:240], s[10:11], v[233:234]
	v_fma_f64 v[227:228], v[243:244], s[10:11], v[227:228]
	s_delay_alu instid0(VALU_DEP_4) | instskip(NEXT) | instid1(VALU_DEP_4)
	v_fma_f64 v[235:236], v[243:244], s[2:3], v[235:236]
	v_fma_f64 v[225:226], v[229:230], s[16:17], v[225:226]
	s_delay_alu instid0(VALU_DEP_4) | instskip(SKIP_4) | instid1(VALU_DEP_4)
	v_fma_f64 v[229:230], v[229:230], s[16:17], v[233:234]
	v_add_f64_e32 v[233:234], v[0:1], v[205:206]
	v_fma_f64 v[227:228], v[231:232], s[16:17], v[227:228]
	v_fma_f64 v[231:232], v[231:232], s[16:17], v[235:236]
	v_add_f64_e32 v[235:236], v[2:3], v[210:211]
	v_fma_f64 v[233:234], v[233:234], -0.5, v[217:218]
	v_add_f64_e32 v[217:218], v[217:218], v[0:1]
	v_add_f64_e64 v[0:1], v[4:5], -v[0:1]
	s_delay_alu instid0(VALU_DEP_4) | instskip(SKIP_3) | instid1(VALU_DEP_3)
	v_fma_f64 v[235:236], v[235:236], -0.5, v[219:220]
	v_add_f64_e32 v[219:220], v[219:220], v[2:3]
	v_add_f64_e64 v[2:3], v[6:7], -v[2:3]
	v_add_f64_e32 v[4:5], v[217:218], v[4:5]
	v_add_f64_e32 v[217:218], v[219:220], v[6:7]
	s_delay_alu instid0(VALU_DEP_2) | instskip(SKIP_1) | instid1(VALU_DEP_3)
	v_add_f64_e32 v[4:5], v[4:5], v[8:9]
	v_add_f64_e64 v[8:9], v[8:9], -v[205:206]
	v_add_f64_e32 v[6:7], v[217:218], v[10:11]
	s_delay_alu instid0(VALU_DEP_3)
	v_add_f64_e32 v[217:218], v[4:5], v[205:206]
	v_add_f64_e64 v[4:5], v[10:11], -v[210:211]
	v_fma_f64 v[10:11], v[239:240], s[12:13], v[233:234]
	v_fma_f64 v[205:206], v[243:244], s[12:13], v[235:236]
	v_add_f64_e32 v[0:1], v[0:1], v[8:9]
	v_add_f64_e32 v[219:220], v[6:7], v[210:211]
	v_fma_f64 v[6:7], v[239:240], s[14:15], v[233:234]
	v_fma_f64 v[210:211], v[243:244], s[14:15], v[235:236]
	v_add_f64_e32 v[2:3], v[2:3], v[4:5]
	v_fma_f64 v[8:9], v[241:242], s[10:11], v[205:206]
	s_delay_alu instid0(VALU_DEP_4)
	v_fma_f64 v[4:5], v[237:238], s[2:3], v[6:7]
	v_fma_f64 v[6:7], v[237:238], s[10:11], v[10:11]
	;; [unrolled: 1-line block ×3, first 2 shown]
	v_add_f64_e64 v[210:211], v[249:250], -v[253:254]
	v_fma_f64 v[235:236], v[2:3], s[16:17], v[8:9]
	v_add_f64_e64 v[8:9], v[251:252], -v[214:215]
	v_fma_f64 v[233:234], v[0:1], s[16:17], v[4:5]
	v_fma_f64 v[237:238], v[0:1], s[16:17], v[6:7]
	;; [unrolled: 1-line block ×3, first 2 shown]
	v_add_f64_e64 v[0:1], v[249:250], -v[12:13]
	v_add_f64_e64 v[2:3], v[253:254], -v[16:17]
	v_add_f64_e64 v[4:5], v[214:215], -v[18:19]
	v_add_f64_e32 v[6:7], v[14:15], v[18:19]
	v_add_f64_e64 v[10:11], v[14:15], -v[18:19]
	s_delay_alu instid0(VALU_DEP_4) | instskip(SKIP_2) | instid1(VALU_DEP_4)
	v_add_f64_e32 v[0:1], v[0:1], v[2:3]
	v_add_f64_e64 v[2:3], v[251:252], -v[14:15]
	s_wait_dscnt 0x0
	v_fma_f64 v[6:7], v[6:7], -0.5, v[223:224]
	s_delay_alu instid0(VALU_DEP_2) | instskip(SKIP_1) | instid1(VALU_DEP_3)
	v_add_f64_e32 v[2:3], v[2:3], v[4:5]
	v_add_f64_e32 v[4:5], v[12:13], v[16:17]
	v_fma_f64 v[22:23], v[210:211], s[12:13], v[6:7]
	v_fma_f64 v[6:7], v[210:211], s[14:15], v[6:7]
	s_delay_alu instid0(VALU_DEP_3) | instskip(NEXT) | instid1(VALU_DEP_3)
	v_fma_f64 v[4:5], v[4:5], -0.5, v[221:222]
	v_fma_f64 v[22:23], v[20:21], s[10:11], v[22:23]
	s_delay_alu instid0(VALU_DEP_3) | instskip(NEXT) | instid1(VALU_DEP_3)
	v_fma_f64 v[6:7], v[20:21], s[2:3], v[6:7]
	v_fma_f64 v[205:206], v[8:9], s[14:15], v[4:5]
	;; [unrolled: 1-line block ×3, first 2 shown]
	s_delay_alu instid0(VALU_DEP_3)
	v_fma_f64 v[247:248], v[2:3], s[16:17], v[6:7]
	v_add_f64_e32 v[6:7], v[223:224], v[14:15]
	v_fma_f64 v[243:244], v[2:3], s[16:17], v[22:23]
	v_add_f64_e32 v[2:3], v[251:252], v[214:215]
	v_add_f64_e64 v[14:15], v[14:15], -v[251:252]
	v_add_f64_e64 v[22:23], v[16:17], -v[253:254]
	v_fma_f64 v[205:206], v[10:11], s[2:3], v[205:206]
	v_fma_f64 v[4:5], v[10:11], s[10:11], v[4:5]
	v_add_f64_e32 v[6:7], v[6:7], v[251:252]
	v_fma_f64 v[2:3], v[2:3], -0.5, v[223:224]
	s_delay_alu instid0(VALU_DEP_4) | instskip(NEXT) | instid1(VALU_DEP_4)
	v_fma_f64 v[241:242], v[0:1], s[16:17], v[205:206]
	v_fma_f64 v[245:246], v[0:1], s[16:17], v[4:5]
	v_add_f64_e32 v[4:5], v[221:222], v[12:13]
	v_add_f64_e32 v[0:1], v[249:250], v[253:254]
	;; [unrolled: 1-line block ×3, first 2 shown]
	v_add_f64_e64 v[12:13], v[12:13], -v[249:250]
	s_delay_alu instid0(VALU_DEP_4) | instskip(NEXT) | instid1(VALU_DEP_4)
	v_add_f64_e32 v[4:5], v[4:5], v[249:250]
	v_fma_f64 v[0:1], v[0:1], -0.5, v[221:222]
	s_delay_alu instid0(VALU_DEP_4) | instskip(NEXT) | instid1(VALU_DEP_4)
	v_add_f64_e32 v[223:224], v[6:7], v[18:19]
	v_add_f64_e32 v[12:13], v[12:13], v[22:23]
	s_delay_alu instid0(VALU_DEP_4) | instskip(NEXT) | instid1(VALU_DEP_4)
	v_add_f64_e32 v[4:5], v[4:5], v[253:254]
	v_fma_f64 v[6:7], v[10:11], s[12:13], v[0:1]
	v_fma_f64 v[0:1], v[10:11], s[14:15], v[0:1]
	v_fma_f64 v[10:11], v[20:21], s[14:15], v[2:3]
	v_fma_f64 v[2:3], v[20:21], s[12:13], v[2:3]
	v_add_f64_e32 v[221:222], v[4:5], v[16:17]
	v_add_f64_e64 v[4:5], v[18:19], -v[214:215]
	v_fma_f64 v[6:7], v[8:9], s[2:3], v[6:7]
	v_fma_f64 v[0:1], v[8:9], s[10:11], v[0:1]
	;; [unrolled: 1-line block ×4, first 2 shown]
	v_lshlrev_b32_e32 v16, 4, v255
	v_add_f64_e32 v[4:5], v[14:15], v[4:5]
	v_fma_f64 v[249:250], v[12:13], s[16:17], v[6:7]
	v_fma_f64 v[0:1], v[12:13], s[16:17], v[0:1]
	s_delay_alu instid0(VALU_DEP_3)
	v_fma_f64 v[251:252], v[4:5], s[16:17], v[8:9]
	v_fma_f64 v[2:3], v[4:5], s[16:17], v[2:3]
	ds_store_b128 v204, v[217:220]
	ds_store_b128 v204, v[221:224] offset:2800
	ds_store_b128 v204, v[225:228] offset:5600
	;; [unrolled: 1-line block ×9, first 2 shown]
	global_wb scope:SCOPE_SE
	s_wait_dscnt 0x0
	s_barrier_signal -1
	s_barrier_wait -1
	global_inv scope:SCOPE_SE
	global_load_b128 v[0:3], v[201:202], off offset:28000
	ds_load_b128 v[217:220], v204
	ds_load_b128 v[221:224], v204 offset:2800
	ds_load_b128 v[225:228], v204 offset:14000
	;; [unrolled: 1-line block ×3, first 2 shown]
	global_load_b128 v[229:232], v16, s[8:9] offset:16800
	s_wait_loadcnt_dscnt 0x103
	v_mul_f64_e32 v[4:5], v[219:220], v[2:3]
	v_mul_f64_e32 v[2:3], v[217:218], v[2:3]
	s_delay_alu instid0(VALU_DEP_2) | instskip(NEXT) | instid1(VALU_DEP_2)
	v_fma_f64 v[217:218], v[217:218], v[0:1], -v[4:5]
	v_fma_f64 v[219:220], v[219:220], v[0:1], v[2:3]
	global_load_b128 v[0:3], v16, s[8:9] offset:14000
	s_wait_loadcnt_dscnt 0x1
	v_mul_f64_e32 v[4:5], v[227:228], v[2:3]
	v_mul_f64_e32 v[2:3], v[225:226], v[2:3]
	s_delay_alu instid0(VALU_DEP_2) | instskip(NEXT) | instid1(VALU_DEP_2)
	v_fma_f64 v[225:226], v[225:226], v[0:1], -v[4:5]
	v_fma_f64 v[227:228], v[227:228], v[0:1], v[2:3]
	s_clause 0x1
	global_load_b128 v[0:3], v16, s[8:9] offset:2800
	global_load_b128 v[237:240], v16, s[8:9] offset:5600
	s_wait_loadcnt 0x1
	v_mul_f64_e32 v[4:5], v[223:224], v[2:3]
	v_mul_f64_e32 v[2:3], v[221:222], v[2:3]
	s_delay_alu instid0(VALU_DEP_2) | instskip(NEXT) | instid1(VALU_DEP_2)
	v_fma_f64 v[221:222], v[221:222], v[0:1], -v[4:5]
	v_fma_f64 v[223:224], v[223:224], v[0:1], v[2:3]
	ds_load_b128 v[0:3], v204 offset:16800
	ds_load_b128 v[241:244], v204 offset:19600
	s_wait_dscnt 0x1
	v_mul_f64_e32 v[4:5], v[2:3], v[231:232]
	v_mul_f64_e32 v[6:7], v[0:1], v[231:232]
	s_delay_alu instid0(VALU_DEP_2) | instskip(NEXT) | instid1(VALU_DEP_2)
	v_fma_f64 v[0:1], v[0:1], v[229:230], -v[4:5]
	v_fma_f64 v[2:3], v[2:3], v[229:230], v[6:7]
	ds_load_b128 v[229:232], v204 offset:5600
	ds_load_b128 v[245:248], v204 offset:8400
	s_wait_loadcnt_dscnt 0x1
	v_mul_f64_e32 v[4:5], v[231:232], v[239:240]
	v_mul_f64_e32 v[6:7], v[229:230], v[239:240]
	s_delay_alu instid0(VALU_DEP_2) | instskip(NEXT) | instid1(VALU_DEP_2)
	v_fma_f64 v[229:230], v[229:230], v[237:238], -v[4:5]
	v_fma_f64 v[231:232], v[231:232], v[237:238], v[6:7]
	s_clause 0x1
	global_load_b128 v[237:240], v16, s[8:9] offset:19600
	global_load_b128 v[249:252], v16, s[8:9] offset:22400
	s_wait_loadcnt 0x1
	v_mul_f64_e32 v[4:5], v[243:244], v[239:240]
	v_mul_f64_e32 v[6:7], v[241:242], v[239:240]
	s_delay_alu instid0(VALU_DEP_2) | instskip(NEXT) | instid1(VALU_DEP_2)
	v_fma_f64 v[239:240], v[241:242], v[237:238], -v[4:5]
	v_fma_f64 v[241:242], v[243:244], v[237:238], v[6:7]
	s_clause 0x1
	global_load_b128 v[200:203], v16, s[8:9] offset:8400
	global_load_b128 v[4:7], v16, s[8:9] offset:11200
	s_wait_loadcnt_dscnt 0x100
	v_mul_f64_e32 v[8:9], v[247:248], v[202:203]
	v_mul_f64_e32 v[10:11], v[245:246], v[202:203]
	s_delay_alu instid0(VALU_DEP_2) | instskip(NEXT) | instid1(VALU_DEP_2)
	v_fma_f64 v[243:244], v[245:246], v[200:201], -v[8:9]
	v_fma_f64 v[245:246], v[247:248], v[200:201], v[10:11]
	ds_load_b128 v[200:203], v204 offset:22400
	ds_load_b128 v[8:11], v204 offset:25200
	s_wait_dscnt 0x1
	v_mul_f64_e32 v[12:13], v[202:203], v[251:252]
	v_mul_f64_e32 v[14:15], v[200:201], v[251:252]
	s_delay_alu instid0(VALU_DEP_2) | instskip(SKIP_3) | instid1(VALU_DEP_4)
	v_fma_f64 v[200:201], v[200:201], v[249:250], -v[12:13]
	s_wait_loadcnt 0x0
	v_mul_f64_e32 v[12:13], v[235:236], v[6:7]
	v_mul_f64_e32 v[6:7], v[233:234], v[6:7]
	v_fma_f64 v[202:203], v[202:203], v[249:250], v[14:15]
	s_delay_alu instid0(VALU_DEP_3) | instskip(NEXT) | instid1(VALU_DEP_3)
	v_fma_f64 v[233:234], v[233:234], v[4:5], -v[12:13]
	v_fma_f64 v[235:236], v[235:236], v[4:5], v[6:7]
	global_load_b128 v[4:7], v16, s[8:9] offset:25200
	s_wait_loadcnt_dscnt 0x0
	v_mul_f64_e32 v[12:13], v[10:11], v[6:7]
	v_mul_f64_e32 v[14:15], v[8:9], v[6:7]
	s_delay_alu instid0(VALU_DEP_2) | instskip(NEXT) | instid1(VALU_DEP_2)
	v_fma_f64 v[6:7], v[8:9], v[4:5], -v[12:13]
	v_fma_f64 v[8:9], v[10:11], v[4:5], v[14:15]
	ds_store_b128 v204, v[217:220]
	ds_store_b128 v204, v[221:224] offset:2800
	ds_store_b128 v204, v[0:3] offset:16800
	;; [unrolled: 1-line block ×9, first 2 shown]
	global_wb scope:SCOPE_SE
	s_wait_dscnt 0x0
	s_barrier_signal -1
	s_barrier_wait -1
	global_inv scope:SCOPE_SE
	ds_load_b128 v[0:3], v204 offset:14000
	ds_load_b128 v[4:7], v204
	ds_load_b128 v[8:11], v204 offset:2800
	ds_load_b128 v[200:203], v204 offset:11200
	ds_load_b128 v[217:220], v204 offset:16800
	ds_load_b128 v[221:224], v204 offset:19600
	ds_load_b128 v[225:228], v204 offset:5600
	ds_load_b128 v[229:232], v204 offset:8400
	ds_load_b128 v[233:236], v204 offset:22400
	ds_load_b128 v[237:240], v204 offset:25200
	global_wb scope:SCOPE_SE
	s_wait_dscnt 0x0
	s_barrier_signal -1
	s_barrier_wait -1
	global_inv scope:SCOPE_SE
	scratch_load_b32 v12, off, off offset:116 th:TH_LOAD_LU ; 4-byte Folded Reload
	v_add_f64_e64 v[0:1], v[4:5], -v[0:1]
	v_add_f64_e64 v[2:3], v[6:7], -v[2:3]
	s_delay_alu instid0(VALU_DEP_2) | instskip(NEXT) | instid1(VALU_DEP_2)
	v_fma_f64 v[4:5], v[4:5], 2.0, -v[0:1]
	v_fma_f64 v[6:7], v[6:7], 2.0, -v[2:3]
	s_wait_loadcnt 0x0
	ds_store_b128 v12, v[0:3] offset:16
	ds_store_b128 v12, v[4:7]
	v_add_f64_e64 v[0:1], v[8:9], -v[217:218]
	v_add_f64_e64 v[2:3], v[10:11], -v[219:220]
	s_delay_alu instid0(VALU_DEP_2)
	v_fma_f64 v[4:5], v[8:9], 2.0, -v[0:1]
	scratch_load_b32 v8, off, off offset:112 th:TH_LOAD_LU ; 4-byte Folded Reload
	v_fma_f64 v[6:7], v[10:11], 2.0, -v[2:3]
	s_wait_loadcnt 0x0
	ds_store_b128 v8, v[0:3] offset:16
	ds_store_b128 v8, v[4:7]
	v_add_f64_e64 v[0:1], v[225:226], -v[221:222]
	v_add_f64_e64 v[2:3], v[227:228], -v[223:224]
	s_delay_alu instid0(VALU_DEP_2) | instskip(NEXT) | instid1(VALU_DEP_2)
	v_fma_f64 v[4:5], v[225:226], 2.0, -v[0:1]
	v_fma_f64 v[6:7], v[227:228], 2.0, -v[2:3]
	ds_store_b128 v216, v[0:3] offset:16
	ds_store_b128 v216, v[4:7]
	scratch_load_b32 v8, off, off offset:124 th:TH_LOAD_LU ; 4-byte Folded Reload
	v_add_f64_e64 v[0:1], v[229:230], -v[233:234]
	v_add_f64_e64 v[2:3], v[231:232], -v[235:236]
	s_delay_alu instid0(VALU_DEP_2) | instskip(NEXT) | instid1(VALU_DEP_2)
	v_fma_f64 v[4:5], v[229:230], 2.0, -v[0:1]
	v_fma_f64 v[6:7], v[231:232], 2.0, -v[2:3]
	s_wait_loadcnt 0x0
	ds_store_b128 v8, v[0:3] offset:16
	ds_store_b128 v8, v[4:7]
	scratch_load_b32 v8, off, off offset:120 th:TH_LOAD_LU ; 4-byte Folded Reload
	v_add_f64_e64 v[0:1], v[200:201], -v[237:238]
	v_add_f64_e64 v[2:3], v[202:203], -v[239:240]
	s_delay_alu instid0(VALU_DEP_2) | instskip(NEXT) | instid1(VALU_DEP_2)
	v_fma_f64 v[4:5], v[200:201], 2.0, -v[0:1]
	v_fma_f64 v[6:7], v[202:203], 2.0, -v[2:3]
	s_wait_loadcnt 0x0
	ds_store_b128 v8, v[0:3] offset:16
	ds_store_b128 v8, v[4:7]
	global_wb scope:SCOPE_SE
	s_wait_dscnt 0x0
	s_barrier_signal -1
	s_barrier_wait -1
	global_inv scope:SCOPE_SE
	ds_load_b128 v[0:3], v204 offset:5600
	ds_load_b128 v[4:7], v204 offset:8400
	s_wait_dscnt 0x1
	v_mul_f64_e32 v[8:9], v[130:131], v[2:3]
	s_delay_alu instid0(VALU_DEP_1) | instskip(SKIP_1) | instid1(VALU_DEP_1)
	v_fma_f64 v[12:13], v[128:129], v[0:1], v[8:9]
	v_mul_f64_e32 v[0:1], v[130:131], v[0:1]
	v_fma_f64 v[14:15], v[128:129], v[2:3], -v[0:1]
	ds_load_b128 v[0:3], v204 offset:11200
	ds_load_b128 v[8:11], v204 offset:14000
	s_wait_dscnt 0x1
	v_mul_f64_e32 v[16:17], v[122:123], v[2:3]
	s_delay_alu instid0(VALU_DEP_1) | instskip(SKIP_1) | instid1(VALU_DEP_1)
	v_fma_f64 v[16:17], v[120:121], v[0:1], v[16:17]
	v_mul_f64_e32 v[0:1], v[122:123], v[0:1]
	v_fma_f64 v[18:19], v[120:121], v[2:3], -v[0:1]
	ds_load_b128 v[0:3], v204 offset:16800
	ds_load_b128 v[120:123], v204 offset:19600
	s_wait_dscnt 0x1
	v_mul_f64_e32 v[20:21], v[114:115], v[2:3]
	s_delay_alu instid0(VALU_DEP_1) | instskip(SKIP_1) | instid1(VALU_DEP_1)
	v_fma_f64 v[20:21], v[112:113], v[0:1], v[20:21]
	v_mul_f64_e32 v[0:1], v[114:115], v[0:1]
	v_fma_f64 v[22:23], v[112:113], v[2:3], -v[0:1]
	ds_load_b128 v[0:3], v204 offset:22400
	ds_load_b128 v[112:115], v204 offset:25200
	s_wait_dscnt 0x1
	v_mul_f64_e32 v[128:129], v[102:103], v[2:3]
	s_delay_alu instid0(VALU_DEP_1) | instskip(SKIP_1) | instid1(VALU_DEP_2)
	v_fma_f64 v[128:129], v[100:101], v[0:1], v[128:129]
	v_mul_f64_e32 v[0:1], v[102:103], v[0:1]
	v_add_f64_e64 v[202:203], v[12:13], -v[128:129]
	s_delay_alu instid0(VALU_DEP_2) | instskip(SKIP_2) | instid1(VALU_DEP_2)
	v_fma_f64 v[130:131], v[100:101], v[2:3], -v[0:1]
	v_mul_f64_e32 v[0:1], v[126:127], v[10:11]
	v_add_f64_e64 v[2:3], v[20:21], -v[128:129]
	v_fma_f64 v[200:201], v[124:125], v[8:9], v[0:1]
	v_mul_f64_e32 v[0:1], v[126:127], v[8:9]
	v_add_f64_e32 v[8:9], v[12:13], v[128:129]
	s_delay_alu instid0(VALU_DEP_2) | instskip(SKIP_1) | instid1(VALU_DEP_1)
	v_fma_f64 v[124:125], v[124:125], v[10:11], -v[0:1]
	v_mul_f64_e32 v[0:1], v[118:119], v[122:123]
	v_fma_f64 v[126:127], v[116:117], v[120:121], v[0:1]
	v_mul_f64_e32 v[0:1], v[118:119], v[120:121]
	s_delay_alu instid0(VALU_DEP_1) | instskip(SKIP_1) | instid1(VALU_DEP_1)
	v_fma_f64 v[116:117], v[116:117], v[122:123], -v[0:1]
	v_mul_f64_e32 v[0:1], v[110:111], v[6:7]
	v_fma_f64 v[118:119], v[108:109], v[4:5], v[0:1]
	v_mul_f64_e32 v[0:1], v[110:111], v[4:5]
	v_add_f64_e64 v[110:111], v[14:15], -v[130:131]
	s_delay_alu instid0(VALU_DEP_2) | instskip(SKIP_3) | instid1(VALU_DEP_2)
	v_fma_f64 v[120:121], v[108:109], v[6:7], -v[0:1]
	s_wait_dscnt 0x0
	v_mul_f64_e32 v[0:1], v[106:107], v[114:115]
	v_add_f64_e64 v[108:109], v[18:19], -v[22:23]
	v_fma_f64 v[122:123], v[104:105], v[112:113], v[0:1]
	v_mul_f64_e32 v[0:1], v[106:107], v[112:113]
	s_delay_alu instid0(VALU_DEP_1) | instskip(SKIP_2) | instid1(VALU_DEP_2)
	v_fma_f64 v[112:113], v[104:105], v[114:115], -v[0:1]
	v_add_f64_e64 v[0:1], v[16:17], -v[12:13]
	v_add_f64_e64 v[114:115], v[16:17], -v[20:21]
	v_add_f64_e32 v[100:101], v[0:1], v[2:3]
	v_add_f64_e64 v[0:1], v[18:19], -v[14:15]
	v_add_f64_e64 v[2:3], v[22:23], -v[130:131]
	s_delay_alu instid0(VALU_DEP_1)
	v_add_f64_e32 v[102:103], v[0:1], v[2:3]
	ds_load_b128 v[0:3], v204
	ds_load_b128 v[4:7], v204 offset:2800
	global_wb scope:SCOPE_SE
	s_wait_dscnt 0x0
	s_barrier_signal -1
	s_barrier_wait -1
	global_inv scope:SCOPE_SE
	v_fma_f64 v[104:105], v[8:9], -0.5, v[0:1]
	v_add_f64_e32 v[8:9], v[14:15], v[130:131]
	s_delay_alu instid0(VALU_DEP_1) | instskip(NEXT) | instid1(VALU_DEP_3)
	v_fma_f64 v[106:107], v[8:9], -0.5, v[2:3]
	v_fma_f64 v[8:9], v[108:109], s[12:13], v[104:105]
	v_fma_f64 v[104:105], v[108:109], s[14:15], v[104:105]
	s_delay_alu instid0(VALU_DEP_3) | instskip(SKIP_1) | instid1(VALU_DEP_4)
	v_fma_f64 v[10:11], v[114:115], s[14:15], v[106:107]
	v_fma_f64 v[106:107], v[114:115], s[12:13], v[106:107]
	;; [unrolled: 1-line block ×3, first 2 shown]
	s_delay_alu instid0(VALU_DEP_4) | instskip(NEXT) | instid1(VALU_DEP_4)
	v_fma_f64 v[104:105], v[110:111], s[2:3], v[104:105]
	v_fma_f64 v[10:11], v[202:203], s[2:3], v[10:11]
	s_delay_alu instid0(VALU_DEP_4) | instskip(NEXT) | instid1(VALU_DEP_4)
	v_fma_f64 v[106:107], v[202:203], s[10:11], v[106:107]
	v_fma_f64 v[8:9], v[100:101], s[16:17], v[8:9]
	s_delay_alu instid0(VALU_DEP_4) | instskip(SKIP_4) | instid1(VALU_DEP_4)
	v_fma_f64 v[100:101], v[100:101], s[16:17], v[104:105]
	v_add_f64_e32 v[104:105], v[16:17], v[20:21]
	v_fma_f64 v[10:11], v[102:103], s[16:17], v[10:11]
	v_fma_f64 v[102:103], v[102:103], s[16:17], v[106:107]
	v_add_f64_e32 v[106:107], v[18:19], v[22:23]
	v_fma_f64 v[104:105], v[104:105], -0.5, v[0:1]
	v_add_f64_e32 v[0:1], v[0:1], v[12:13]
	v_add_f64_e64 v[12:13], v[12:13], -v[16:17]
	s_delay_alu instid0(VALU_DEP_4) | instskip(SKIP_4) | instid1(VALU_DEP_4)
	v_fma_f64 v[106:107], v[106:107], -0.5, v[2:3]
	v_add_f64_e32 v[2:3], v[2:3], v[14:15]
	v_add_f64_e64 v[14:15], v[14:15], -v[18:19]
	v_add_f64_e32 v[0:1], v[0:1], v[16:17]
	v_add_f64_e64 v[16:17], v[128:129], -v[20:21]
	;; [unrolled: 2-line block ×3, first 2 shown]
	s_delay_alu instid0(VALU_DEP_4)
	v_add_f64_e32 v[0:1], v[0:1], v[20:21]
	v_fma_f64 v[20:21], v[110:111], s[14:15], v[104:105]
	v_add_f64_e32 v[12:13], v[12:13], v[16:17]
	v_add_f64_e32 v[2:3], v[2:3], v[22:23]
	v_fma_f64 v[22:23], v[110:111], s[12:13], v[104:105]
	v_fma_f64 v[104:105], v[202:203], s[12:13], v[106:107]
	;; [unrolled: 1-line block ×3, first 2 shown]
	v_add_f64_e32 v[14:15], v[14:15], v[18:19]
	v_fma_f64 v[16:17], v[108:109], s[10:11], v[20:21]
	v_add_f64_e32 v[0:1], v[0:1], v[128:129]
	v_add_f64_e32 v[2:3], v[2:3], v[130:131]
	v_fma_f64 v[18:19], v[108:109], s[2:3], v[22:23]
	v_fma_f64 v[20:21], v[114:115], s[2:3], v[104:105]
	;; [unrolled: 1-line block ×4, first 2 shown]
	v_add_f64_e64 v[16:17], v[124:125], -v[116:117]
	v_fma_f64 v[108:109], v[12:13], s[16:17], v[18:19]
	v_fma_f64 v[106:107], v[14:15], s[16:17], v[20:21]
	;; [unrolled: 1-line block ×3, first 2 shown]
	ds_store_b128 v212, v[0:3]
	ds_store_b128 v212, v[104:107] offset:32
	ds_store_b128 v212, v[8:11] offset:64
	;; [unrolled: 1-line block ×4, first 2 shown]
	v_add_f64_e64 v[0:1], v[200:201], -v[118:119]
	v_add_f64_e64 v[2:3], v[126:127], -v[122:123]
	;; [unrolled: 1-line block ×9, first 2 shown]
	v_add_f64_e32 v[8:9], v[0:1], v[2:3]
	v_add_f64_e64 v[0:1], v[124:125], -v[120:121]
	v_add_f64_e64 v[2:3], v[116:117], -v[112:113]
	s_delay_alu instid0(VALU_DEP_4) | instskip(NEXT) | instid1(VALU_DEP_2)
	v_add_f64_e32 v[106:107], v[102:103], v[106:107]
	v_add_f64_e32 v[10:11], v[0:1], v[2:3]
	;; [unrolled: 1-line block ×3, first 2 shown]
	s_delay_alu instid0(VALU_DEP_1) | instskip(SKIP_1) | instid1(VALU_DEP_1)
	v_fma_f64 v[12:13], v[0:1], -0.5, v[4:5]
	v_add_f64_e32 v[0:1], v[120:121], v[112:113]
	v_fma_f64 v[14:15], v[0:1], -0.5, v[6:7]
	s_delay_alu instid0(VALU_DEP_3) | instskip(SKIP_1) | instid1(VALU_DEP_3)
	v_fma_f64 v[0:1], v[16:17], s[12:13], v[12:13]
	v_fma_f64 v[12:13], v[16:17], s[14:15], v[12:13]
	;; [unrolled: 1-line block ×4, first 2 shown]
	s_delay_alu instid0(VALU_DEP_4) | instskip(NEXT) | instid1(VALU_DEP_4)
	v_fma_f64 v[0:1], v[18:19], s[10:11], v[0:1]
	v_fma_f64 v[12:13], v[18:19], s[2:3], v[12:13]
	s_delay_alu instid0(VALU_DEP_4) | instskip(NEXT) | instid1(VALU_DEP_4)
	v_fma_f64 v[2:3], v[22:23], s[2:3], v[2:3]
	v_fma_f64 v[14:15], v[22:23], s[10:11], v[14:15]
	;; [unrolled: 3-line block ×3, first 2 shown]
	v_add_f64_e32 v[12:13], v[200:201], v[126:127]
	v_fma_f64 v[2:3], v[10:11], s[16:17], v[2:3]
	v_fma_f64 v[10:11], v[10:11], s[16:17], v[14:15]
	v_add_f64_e32 v[14:15], v[124:125], v[116:117]
	s_delay_alu instid0(VALU_DEP_4) | instskip(SKIP_1) | instid1(VALU_DEP_3)
	v_fma_f64 v[12:13], v[12:13], -0.5, v[4:5]
	v_add_f64_e32 v[4:5], v[4:5], v[118:119]
	v_fma_f64 v[14:15], v[14:15], -0.5, v[6:7]
	v_add_f64_e32 v[6:7], v[6:7], v[120:121]
	s_delay_alu instid0(VALU_DEP_4) | instskip(NEXT) | instid1(VALU_DEP_4)
	v_fma_f64 v[108:109], v[18:19], s[14:15], v[12:13]
	v_add_f64_e32 v[4:5], v[4:5], v[200:201]
	v_fma_f64 v[12:13], v[18:19], s[12:13], v[12:13]
	v_fma_f64 v[18:19], v[22:23], s[12:13], v[14:15]
	v_add_f64_e32 v[6:7], v[6:7], v[124:125]
	v_fma_f64 v[14:15], v[22:23], s[14:15], v[14:15]
	v_add_f64_e32 v[4:5], v[4:5], v[126:127]
	v_add_f64_e32 v[22:23], v[100:101], v[104:105]
	v_fma_f64 v[100:101], v[16:17], s[10:11], v[108:109]
	v_fma_f64 v[12:13], v[16:17], s[2:3], v[12:13]
	;; [unrolled: 1-line block ×3, first 2 shown]
	v_add_f64_e32 v[6:7], v[6:7], v[116:117]
	v_fma_f64 v[14:15], v[20:21], s[10:11], v[14:15]
	v_add_f64_e32 v[4:5], v[4:5], v[122:123]
	v_fma_f64 v[100:101], v[22:23], s[16:17], v[100:101]
	v_fma_f64 v[104:105], v[22:23], s[16:17], v[12:13]
	v_fma_f64 v[102:103], v[106:107], s[16:17], v[16:17]
	v_add_f64_e32 v[6:7], v[6:7], v[112:113]
	v_fma_f64 v[106:107], v[106:107], s[16:17], v[14:15]
	ds_store_b128 v209, v[4:7]
	ds_store_b128 v209, v[100:103] offset:32
	ds_store_b128 v209, v[0:3] offset:64
	ds_store_b128 v209, v[8:11] offset:96
	ds_store_b128 v209, v[104:107] offset:128
	global_wb scope:SCOPE_SE
	s_wait_dscnt 0x0
	s_barrier_signal -1
	s_barrier_wait -1
	global_inv scope:SCOPE_SE
	ds_load_b128 v[0:3], v204 offset:5600
	ds_load_b128 v[4:7], v204 offset:8400
	s_wait_dscnt 0x1
	v_mul_f64_e32 v[8:9], v[94:95], v[2:3]
	s_delay_alu instid0(VALU_DEP_1) | instskip(SKIP_1) | instid1(VALU_DEP_1)
	v_fma_f64 v[12:13], v[92:93], v[0:1], v[8:9]
	v_mul_f64_e32 v[0:1], v[94:95], v[0:1]
	v_fma_f64 v[14:15], v[92:93], v[2:3], -v[0:1]
	ds_load_b128 v[0:3], v204 offset:11200
	ds_load_b128 v[8:11], v204 offset:14000
	s_wait_dscnt 0x1
	v_mul_f64_e32 v[16:17], v[82:83], v[2:3]
	s_delay_alu instid0(VALU_DEP_1) | instskip(SKIP_1) | instid1(VALU_DEP_1)
	v_fma_f64 v[16:17], v[80:81], v[0:1], v[16:17]
	v_mul_f64_e32 v[0:1], v[82:83], v[0:1]
	v_fma_f64 v[18:19], v[80:81], v[2:3], -v[0:1]
	;; [unrolled: 8-line block ×3, first 2 shown]
	ds_load_b128 v[0:3], v204 offset:22400
	ds_load_b128 v[68:71], v204 offset:25200
	s_wait_dscnt 0x1
	v_mul_f64_e32 v[92:93], v[66:67], v[2:3]
	s_delay_alu instid0(VALU_DEP_1) | instskip(SKIP_1) | instid1(VALU_DEP_2)
	v_fma_f64 v[92:93], v[64:65], v[0:1], v[92:93]
	v_mul_f64_e32 v[0:1], v[66:67], v[0:1]
	v_add_f64_e64 v[102:103], v[12:13], -v[92:93]
	s_delay_alu instid0(VALU_DEP_2) | instskip(SKIP_2) | instid1(VALU_DEP_2)
	v_fma_f64 v[94:95], v[64:65], v[2:3], -v[0:1]
	v_mul_f64_e32 v[0:1], v[90:91], v[10:11]
	v_add_f64_e64 v[2:3], v[20:21], -v[92:93]
	v_fma_f64 v[100:101], v[88:89], v[8:9], v[0:1]
	v_mul_f64_e32 v[0:1], v[90:91], v[8:9]
	v_add_f64_e32 v[8:9], v[12:13], v[92:93]
	s_delay_alu instid0(VALU_DEP_2) | instskip(SKIP_1) | instid1(VALU_DEP_1)
	v_fma_f64 v[88:89], v[88:89], v[10:11], -v[0:1]
	v_mul_f64_e32 v[0:1], v[86:87], v[82:83]
	v_fma_f64 v[90:91], v[84:85], v[80:81], v[0:1]
	v_mul_f64_e32 v[0:1], v[86:87], v[80:81]
	v_add_f64_e64 v[86:87], v[16:17], -v[20:21]
	s_delay_alu instid0(VALU_DEP_2) | instskip(SKIP_1) | instid1(VALU_DEP_1)
	v_fma_f64 v[80:81], v[84:85], v[82:83], -v[0:1]
	v_mul_f64_e32 v[0:1], v[78:79], v[6:7]
	v_fma_f64 v[82:83], v[76:77], v[4:5], v[0:1]
	v_mul_f64_e32 v[0:1], v[78:79], v[4:5]
	s_delay_alu instid0(VALU_DEP_1) | instskip(SKIP_2) | instid1(VALU_DEP_1)
	v_fma_f64 v[76:77], v[76:77], v[6:7], -v[0:1]
	s_wait_dscnt 0x0
	v_mul_f64_e32 v[0:1], v[74:75], v[70:71]
	v_fma_f64 v[78:79], v[72:73], v[68:69], v[0:1]
	v_mul_f64_e32 v[0:1], v[74:75], v[68:69]
	v_add_f64_e64 v[74:75], v[14:15], -v[94:95]
	s_delay_alu instid0(VALU_DEP_2) | instskip(SKIP_2) | instid1(VALU_DEP_2)
	v_fma_f64 v[84:85], v[72:73], v[70:71], -v[0:1]
	v_add_f64_e64 v[0:1], v[16:17], -v[12:13]
	v_add_f64_e64 v[72:73], v[18:19], -v[22:23]
	v_add_f64_e32 v[64:65], v[0:1], v[2:3]
	v_add_f64_e64 v[0:1], v[18:19], -v[14:15]
	v_add_f64_e64 v[2:3], v[22:23], -v[94:95]
	s_delay_alu instid0(VALU_DEP_1)
	v_add_f64_e32 v[66:67], v[0:1], v[2:3]
	ds_load_b128 v[0:3], v204
	ds_load_b128 v[4:7], v204 offset:2800
	global_wb scope:SCOPE_SE
	s_wait_dscnt 0x0
	s_barrier_signal -1
	s_barrier_wait -1
	global_inv scope:SCOPE_SE
	v_fma_f64 v[68:69], v[8:9], -0.5, v[0:1]
	v_add_f64_e32 v[8:9], v[14:15], v[94:95]
	s_delay_alu instid0(VALU_DEP_1) | instskip(NEXT) | instid1(VALU_DEP_3)
	v_fma_f64 v[70:71], v[8:9], -0.5, v[2:3]
	v_fma_f64 v[8:9], v[72:73], s[12:13], v[68:69]
	v_fma_f64 v[68:69], v[72:73], s[14:15], v[68:69]
	s_delay_alu instid0(VALU_DEP_3) | instskip(SKIP_1) | instid1(VALU_DEP_4)
	v_fma_f64 v[10:11], v[86:87], s[14:15], v[70:71]
	v_fma_f64 v[70:71], v[86:87], s[12:13], v[70:71]
	;; [unrolled: 1-line block ×3, first 2 shown]
	s_delay_alu instid0(VALU_DEP_4) | instskip(NEXT) | instid1(VALU_DEP_4)
	v_fma_f64 v[68:69], v[74:75], s[2:3], v[68:69]
	v_fma_f64 v[10:11], v[102:103], s[2:3], v[10:11]
	s_delay_alu instid0(VALU_DEP_4) | instskip(NEXT) | instid1(VALU_DEP_4)
	v_fma_f64 v[70:71], v[102:103], s[10:11], v[70:71]
	v_fma_f64 v[8:9], v[64:65], s[16:17], v[8:9]
	s_delay_alu instid0(VALU_DEP_4) | instskip(SKIP_4) | instid1(VALU_DEP_4)
	v_fma_f64 v[64:65], v[64:65], s[16:17], v[68:69]
	v_add_f64_e32 v[68:69], v[16:17], v[20:21]
	v_fma_f64 v[10:11], v[66:67], s[16:17], v[10:11]
	v_fma_f64 v[66:67], v[66:67], s[16:17], v[70:71]
	v_add_f64_e32 v[70:71], v[18:19], v[22:23]
	v_fma_f64 v[68:69], v[68:69], -0.5, v[0:1]
	v_add_f64_e32 v[0:1], v[0:1], v[12:13]
	v_add_f64_e64 v[12:13], v[12:13], -v[16:17]
	s_delay_alu instid0(VALU_DEP_4) | instskip(SKIP_4) | instid1(VALU_DEP_4)
	v_fma_f64 v[70:71], v[70:71], -0.5, v[2:3]
	v_add_f64_e32 v[2:3], v[2:3], v[14:15]
	v_add_f64_e64 v[14:15], v[14:15], -v[18:19]
	v_add_f64_e32 v[0:1], v[0:1], v[16:17]
	v_add_f64_e64 v[16:17], v[92:93], -v[20:21]
	;; [unrolled: 2-line block ×3, first 2 shown]
	s_delay_alu instid0(VALU_DEP_4)
	v_add_f64_e32 v[0:1], v[0:1], v[20:21]
	v_fma_f64 v[20:21], v[74:75], s[14:15], v[68:69]
	v_add_f64_e32 v[12:13], v[12:13], v[16:17]
	v_add_f64_e32 v[2:3], v[2:3], v[22:23]
	v_fma_f64 v[22:23], v[74:75], s[12:13], v[68:69]
	v_fma_f64 v[68:69], v[102:103], s[12:13], v[70:71]
	;; [unrolled: 1-line block ×3, first 2 shown]
	v_add_f64_e32 v[14:15], v[14:15], v[18:19]
	v_fma_f64 v[16:17], v[72:73], s[10:11], v[20:21]
	v_add_f64_e32 v[0:1], v[0:1], v[92:93]
	v_add_f64_e32 v[2:3], v[2:3], v[94:95]
	v_fma_f64 v[18:19], v[72:73], s[2:3], v[22:23]
	v_fma_f64 v[20:21], v[86:87], s[2:3], v[68:69]
	;; [unrolled: 1-line block ×4, first 2 shown]
	s_delay_alu instid0(VALU_DEP_4) | instskip(NEXT) | instid1(VALU_DEP_4)
	v_fma_f64 v[72:73], v[12:13], s[16:17], v[18:19]
	v_fma_f64 v[70:71], v[14:15], s[16:17], v[20:21]
	s_delay_alu instid0(VALU_DEP_4)
	v_fma_f64 v[74:75], v[14:15], s[16:17], v[22:23]
	ds_store_b128 v208, v[0:3]
	ds_store_b128 v208, v[68:71] offset:160
	ds_store_b128 v208, v[8:11] offset:320
	;; [unrolled: 1-line block ×4, first 2 shown]
	v_add_f64_e64 v[0:1], v[100:101], -v[82:83]
	v_add_f64_e64 v[2:3], v[90:91], -v[78:79]
	;; [unrolled: 1-line block ×4, first 2 shown]
	v_add_f64_e32 v[10:11], v[76:77], v[84:85]
	v_add_f64_e64 v[14:15], v[76:77], -v[84:85]
	v_add_f64_e64 v[18:19], v[100:101], -v[90:91]
	;; [unrolled: 1-line block ×3, first 2 shown]
	v_add_f64_e32 v[0:1], v[0:1], v[2:3]
	v_add_f64_e64 v[2:3], v[88:89], -v[76:77]
	v_fma_f64 v[10:11], v[10:11], -0.5, v[6:7]
	s_delay_alu instid0(VALU_DEP_2) | instskip(SKIP_1) | instid1(VALU_DEP_3)
	v_add_f64_e32 v[2:3], v[2:3], v[8:9]
	v_add_f64_e32 v[8:9], v[82:83], v[78:79]
	v_fma_f64 v[22:23], v[18:19], s[14:15], v[10:11]
	v_fma_f64 v[10:11], v[18:19], s[12:13], v[10:11]
	s_delay_alu instid0(VALU_DEP_3) | instskip(NEXT) | instid1(VALU_DEP_3)
	v_fma_f64 v[8:9], v[8:9], -0.5, v[4:5]
	v_fma_f64 v[22:23], v[20:21], s[2:3], v[22:23]
	s_delay_alu instid0(VALU_DEP_3) | instskip(NEXT) | instid1(VALU_DEP_3)
	v_fma_f64 v[10:11], v[20:21], s[10:11], v[10:11]
	v_fma_f64 v[16:17], v[12:13], s[12:13], v[8:9]
	;; [unrolled: 1-line block ×3, first 2 shown]
	s_delay_alu instid0(VALU_DEP_4) | instskip(NEXT) | instid1(VALU_DEP_4)
	v_fma_f64 v[66:67], v[2:3], s[16:17], v[22:23]
	v_fma_f64 v[70:71], v[2:3], s[16:17], v[10:11]
	v_add_f64_e32 v[2:3], v[6:7], v[76:77]
	v_add_f64_e64 v[22:23], v[84:85], -v[80:81]
	v_fma_f64 v[16:17], v[14:15], s[10:11], v[16:17]
	v_fma_f64 v[8:9], v[14:15], s[2:3], v[8:9]
	s_delay_alu instid0(VALU_DEP_4) | instskip(NEXT) | instid1(VALU_DEP_3)
	v_add_f64_e32 v[2:3], v[2:3], v[88:89]
	v_fma_f64 v[64:65], v[0:1], s[16:17], v[16:17]
	s_delay_alu instid0(VALU_DEP_3) | instskip(SKIP_3) | instid1(VALU_DEP_3)
	v_fma_f64 v[68:69], v[0:1], s[16:17], v[8:9]
	v_add_f64_e32 v[0:1], v[100:101], v[90:91]
	v_add_f64_e64 v[16:17], v[78:79], -v[90:91]
	v_add_f64_e32 v[2:3], v[2:3], v[80:81]
	v_fma_f64 v[8:9], v[0:1], -0.5, v[4:5]
	v_add_f64_e32 v[0:1], v[88:89], v[80:81]
	s_delay_alu instid0(VALU_DEP_3) | instskip(NEXT) | instid1(VALU_DEP_3)
	v_add_f64_e32 v[2:3], v[2:3], v[84:85]
	v_fma_f64 v[72:73], v[14:15], s[14:15], v[8:9]
	s_delay_alu instid0(VALU_DEP_3)
	v_fma_f64 v[10:11], v[0:1], -0.5, v[6:7]
	v_add_f64_e32 v[0:1], v[4:5], v[82:83]
	v_add_f64_e64 v[4:5], v[82:83], -v[100:101]
	v_add_f64_e64 v[6:7], v[76:77], -v[88:89]
	v_fma_f64 v[8:9], v[14:15], s[12:13], v[8:9]
	v_fma_f64 v[14:15], v[20:21], s[12:13], v[10:11]
	v_add_f64_e32 v[0:1], v[0:1], v[100:101]
	v_fma_f64 v[10:11], v[20:21], s[14:15], v[10:11]
	v_add_f64_e32 v[16:17], v[4:5], v[16:17]
	v_add_f64_e32 v[20:21], v[6:7], v[22:23]
	v_fma_f64 v[4:5], v[12:13], s[10:11], v[72:73]
	v_fma_f64 v[8:9], v[12:13], s[2:3], v[8:9]
	;; [unrolled: 1-line block ×3, first 2 shown]
	v_add_f64_e32 v[0:1], v[0:1], v[90:91]
	v_fma_f64 v[10:11], v[18:19], s[10:11], v[10:11]
	v_fma_f64 v[4:5], v[16:17], s[16:17], v[4:5]
	;; [unrolled: 1-line block ×4, first 2 shown]
	v_add_f64_e32 v[0:1], v[0:1], v[78:79]
	v_fma_f64 v[74:75], v[20:21], s[16:17], v[10:11]
	ds_store_b128 v207, v[0:3]
	ds_store_b128 v207, v[4:7] offset:160
	ds_store_b128 v207, v[64:67] offset:320
	;; [unrolled: 1-line block ×4, first 2 shown]
	global_wb scope:SCOPE_SE
	s_wait_dscnt 0x0
	s_barrier_signal -1
	s_barrier_wait -1
	global_inv scope:SCOPE_SE
	ds_load_b128 v[76:79], v204
	ds_load_b128 v[100:103], v204 offset:4000
	ds_load_b128 v[92:95], v204 offset:8000
	;; [unrolled: 1-line block ×6, first 2 shown]
	s_and_saveexec_b32 s2, vcc_lo
	s_cbranch_execz .LBB0_7
; %bb.6:
	ds_load_b128 v[64:67], v204 offset:2800
	ds_load_b128 v[68:71], v204 offset:6800
	;; [unrolled: 1-line block ×7, first 2 shown]
.LBB0_7:
	s_wait_alu 0xfffe
	s_or_b32 exec_lo, exec_lo, s2
	s_wait_dscnt 0x5
	v_mul_f64_e32 v[0:1], v[98:99], v[102:103]
	v_mul_f64_e32 v[2:3], v[98:99], v[100:101]
	s_wait_dscnt 0x4
	v_mul_f64_e32 v[4:5], v[134:135], v[94:95]
	v_mul_f64_e32 v[6:7], v[134:135], v[92:93]
	;; [unrolled: 3-line block ×3, first 2 shown]
	v_mul_f64_e32 v[12:13], v[142:143], v[90:91]
	v_mul_f64_e32 v[14:15], v[142:143], v[88:89]
	;; [unrolled: 1-line block ×6, first 2 shown]
	s_mov_b32 s8, 0x37e14327
	s_mov_b32 s12, 0xe976ee23
	;; [unrolled: 1-line block ×15, first 2 shown]
	s_wait_alu 0xfffe
	s_mov_b32 s18, s14
	s_mov_b32 s22, s20
	s_mov_b32 s24, 0x37c3f68c
	s_mov_b32 s25, 0xbfdc38aa
	global_wb scope:SCOPE_SE
	s_barrier_signal -1
	s_barrier_wait -1
	global_inv scope:SCOPE_SE
	v_fma_f64 v[0:1], v[96:97], v[100:101], v[0:1]
	v_fma_f64 v[2:3], v[96:97], v[102:103], -v[2:3]
	v_fma_f64 v[4:5], v[132:133], v[92:93], v[4:5]
	v_fma_f64 v[6:7], v[132:133], v[94:95], -v[6:7]
	;; [unrolled: 2-line block ×6, first 2 shown]
	v_add_f64_e32 v[80:81], v[0:1], v[8:9]
	v_add_f64_e32 v[82:83], v[2:3], v[10:11]
	;; [unrolled: 1-line block ×4, first 2 shown]
	v_add_f64_e64 v[4:5], v[4:5], -v[12:13]
	v_add_f64_e64 v[6:7], v[6:7], -v[14:15]
	v_add_f64_e32 v[12:13], v[16:17], v[20:21]
	v_add_f64_e32 v[14:15], v[18:19], v[22:23]
	v_add_f64_e64 v[16:17], v[20:21], -v[16:17]
	v_add_f64_e64 v[18:19], v[22:23], -v[18:19]
	;; [unrolled: 1-line block ×4, first 2 shown]
	v_add_f64_e32 v[0:1], v[84:85], v[80:81]
	v_add_f64_e32 v[2:3], v[86:87], v[82:83]
	v_add_f64_e64 v[20:21], v[80:81], -v[12:13]
	v_add_f64_e64 v[22:23], v[82:83], -v[14:15]
	;; [unrolled: 1-line block ×6, first 2 shown]
	v_add_f64_e32 v[4:5], v[16:17], v[4:5]
	v_add_f64_e32 v[6:7], v[18:19], v[6:7]
	v_add_f64_e64 v[16:17], v[8:9], -v[16:17]
	v_add_f64_e64 v[18:19], v[10:11], -v[18:19]
	v_add_f64_e32 v[96:97], v[12:13], v[0:1]
	v_add_f64_e32 v[98:99], v[14:15], v[2:3]
	v_add_f64_e64 v[12:13], v[12:13], -v[84:85]
	v_add_f64_e64 v[14:15], v[14:15], -v[86:87]
	v_mul_f64_e32 v[20:21], s[8:9], v[20:21]
	v_mul_f64_e32 v[22:23], s[8:9], v[22:23]
	;; [unrolled: 1-line block ×6, first 2 shown]
	v_add_f64_e32 v[4:5], v[4:5], v[8:9]
	v_add_f64_e32 v[6:7], v[6:7], v[10:11]
	;; [unrolled: 1-line block ×4, first 2 shown]
	v_add_f64_e64 v[76:77], v[84:85], -v[80:81]
	v_add_f64_e64 v[78:79], v[86:87], -v[82:83]
	v_mul_f64_e32 v[80:81], s[16:17], v[12:13]
	v_mul_f64_e32 v[82:83], s[16:17], v[14:15]
	v_fma_f64 v[8:9], v[12:13], s[16:17], v[20:21]
	v_fma_f64 v[10:11], v[14:15], s[16:17], v[22:23]
	;; [unrolled: 1-line block ×4, first 2 shown]
	v_fma_f64 v[84:85], v[92:93], s[2:3], -v[88:89]
	v_fma_f64 v[86:87], v[94:95], s[2:3], -v[90:91]
	s_wait_alu 0xfffe
	v_fma_f64 v[16:17], v[16:17], s[22:23], -v[100:101]
	v_fma_f64 v[18:19], v[18:19], s[22:23], -v[102:103]
	v_fma_f64 v[88:89], v[96:97], s[10:11], v[0:1]
	v_fma_f64 v[90:91], v[98:99], s[10:11], v[2:3]
	v_fma_f64 v[20:21], v[76:77], s[18:19], -v[20:21]
	v_fma_f64 v[22:23], v[78:79], s[18:19], -v[22:23]
	;; [unrolled: 1-line block ×4, first 2 shown]
	v_fma_f64 v[12:13], v[4:5], s[24:25], v[12:13]
	v_fma_f64 v[14:15], v[6:7], s[24:25], v[14:15]
	;; [unrolled: 1-line block ×6, first 2 shown]
	v_add_f64_e32 v[92:93], v[8:9], v[88:89]
	v_add_f64_e32 v[94:95], v[10:11], v[90:91]
	;; [unrolled: 1-line block ×7, first 2 shown]
	v_add_f64_e64 v[6:7], v[94:95], -v[12:13]
	v_add_f64_e32 v[8:9], v[18:19], v[20:21]
	v_add_f64_e64 v[10:11], v[22:23], -v[16:17]
	v_add_f64_e64 v[76:77], v[84:85], -v[80:81]
	v_add_f64_e32 v[78:79], v[82:83], v[86:87]
	v_add_f64_e32 v[80:81], v[80:81], v[84:85]
	v_add_f64_e64 v[82:83], v[86:87], -v[82:83]
	v_add_f64_e64 v[84:85], v[20:21], -v[18:19]
	v_add_f64_e32 v[86:87], v[16:17], v[22:23]
	v_add_f64_e64 v[88:89], v[92:93], -v[14:15]
	v_add_f64_e32 v[90:91], v[12:13], v[94:95]
	ds_store_b128 v213, v[0:3]
	ds_store_b128 v213, v[4:7] offset:800
	ds_store_b128 v213, v[8:11] offset:1600
	;; [unrolled: 1-line block ×6, first 2 shown]
	s_and_saveexec_b32 s26, vcc_lo
	s_cbranch_execz .LBB0_9
; %bb.8:
	v_mul_f64_e32 v[0:1], v[50:51], v[196:197]
	v_mul_f64_e32 v[2:3], v[42:43], v[68:69]
	;; [unrolled: 1-line block ×12, first 2 shown]
	v_fma_f64 v[0:1], v[48:49], v[198:199], -v[0:1]
	v_fma_f64 v[2:3], v[40:41], v[70:71], -v[2:3]
	;; [unrolled: 1-line block ×4, first 2 shown]
	v_fma_f64 v[8:9], v[40:41], v[68:69], v[8:9]
	v_fma_f64 v[10:11], v[48:49], v[196:197], v[10:11]
	;; [unrolled: 1-line block ×6, first 2 shown]
	v_fma_f64 v[20:21], v[56:57], v[158:159], -v[20:21]
	v_fma_f64 v[22:23], v[60:61], v[166:167], -v[22:23]
	v_add_f64_e32 v[40:41], v[2:3], v[0:1]
	v_add_f64_e32 v[42:43], v[6:7], v[4:5]
	v_add_f64_e64 v[4:5], v[6:7], -v[4:5]
	v_add_f64_e32 v[44:45], v[8:9], v[10:11]
	v_add_f64_e64 v[8:9], v[8:9], -v[10:11]
	;; [unrolled: 2-line block ×3, first 2 shown]
	v_add_f64_e64 v[48:49], v[16:17], -v[18:19]
	v_add_f64_e32 v[16:17], v[18:19], v[16:17]
	v_add_f64_e32 v[14:15], v[20:21], v[22:23]
	v_add_f64_e64 v[18:19], v[22:23], -v[20:21]
	v_add_f64_e64 v[6:7], v[2:3], -v[0:1]
	v_add_f64_e32 v[10:11], v[42:43], v[40:41]
	v_add_f64_e32 v[0:1], v[46:47], v[44:45]
	v_add_f64_e64 v[50:51], v[12:13], -v[8:9]
	v_add_f64_e64 v[2:3], v[48:49], -v[12:13]
	;; [unrolled: 1-line block ×6, first 2 shown]
	v_add_f64_e32 v[12:13], v[48:49], v[12:13]
	v_add_f64_e32 v[4:5], v[18:19], v[4:5]
	v_add_f64_e64 v[18:19], v[6:7], -v[18:19]
	v_add_f64_e64 v[22:23], v[44:45], -v[16:17]
	;; [unrolled: 1-line block ×4, first 2 shown]
	v_add_f64_e32 v[10:11], v[14:15], v[10:11]
	v_add_f64_e64 v[14:15], v[14:15], -v[42:43]
	v_add_f64_e32 v[56:57], v[16:17], v[0:1]
	v_mul_f64_e32 v[60:61], s[2:3], v[50:51]
	v_mul_f64_e32 v[48:49], s[12:13], v[2:3]
	v_add_f64_e64 v[16:17], v[16:17], -v[46:47]
	v_mul_f64_e32 v[20:21], s[8:9], v[20:21]
	v_mul_f64_e32 v[52:53], s[12:13], v[52:53]
	;; [unrolled: 1-line block ×3, first 2 shown]
	v_add_f64_e32 v[8:9], v[12:13], v[8:9]
	v_add_f64_e32 v[4:5], v[4:5], v[6:7]
	v_mul_f64_e32 v[22:23], s[8:9], v[22:23]
	v_add_f64_e32 v[2:3], v[66:67], v[10:11]
	v_mul_f64_e32 v[42:43], s[16:17], v[14:15]
	v_add_f64_e32 v[0:1], v[64:65], v[56:57]
	v_fma_f64 v[6:7], v[58:59], s[20:21], v[48:49]
	v_fma_f64 v[48:49], v[50:51], s[2:3], -v[48:49]
	v_fma_f64 v[12:13], v[14:15], s[16:17], v[20:21]
	v_fma_f64 v[50:51], v[54:55], s[2:3], -v[52:53]
	v_mul_f64_e32 v[46:47], s[16:17], v[16:17]
	v_fma_f64 v[20:21], v[40:41], s[18:19], -v[20:21]
	v_fma_f64 v[14:15], v[16:17], s[16:17], v[22:23]
	v_fma_f64 v[16:17], v[58:59], s[22:23], -v[60:61]
	v_fma_f64 v[22:23], v[44:45], s[18:19], -v[22:23]
	v_fma_f64 v[10:11], v[10:11], s[10:11], v[2:3]
	v_fma_f64 v[40:41], v[40:41], s[14:15], -v[42:43]
	v_fma_f64 v[42:43], v[18:19], s[20:21], v[52:53]
	;; [unrolled: 2-line block ×3, first 2 shown]
	v_fma_f64 v[54:55], v[8:9], s[24:25], v[6:7]
	v_fma_f64 v[44:45], v[44:45], s[14:15], -v[46:47]
	v_fma_f64 v[16:17], v[8:9], s[24:25], v[16:17]
	v_fma_f64 v[8:9], v[8:9], s[24:25], v[48:49]
	v_add_f64_e32 v[12:13], v[12:13], v[10:11]
	v_add_f64_e32 v[20:21], v[20:21], v[10:11]
	v_fma_f64 v[56:57], v[4:5], s[24:25], v[42:43]
	v_fma_f64 v[18:19], v[4:5], s[24:25], v[18:19]
	v_add_f64_e32 v[14:15], v[14:15], v[52:53]
	v_add_f64_e32 v[22:23], v[22:23], v[52:53]
	;; [unrolled: 1-line block ×3, first 2 shown]
	v_fma_f64 v[4:5], v[4:5], s[24:25], v[50:51]
	v_add_f64_e32 v[58:59], v[44:45], v[52:53]
	v_add_f64_e32 v[6:7], v[54:55], v[12:13]
	v_add_f64_e64 v[54:55], v[12:13], -v[54:55]
	s_clause 0x1
	scratch_load_b32 v12, off, off offset:104 th:TH_LOAD_LU
	scratch_load_b32 v13, off, off offset:108 th:TH_LOAD_LU
	v_add_f64_e64 v[50:51], v[20:21], -v[16:17]
	v_add_f64_e32 v[52:53], v[56:57], v[14:15]
	v_add_f64_e32 v[48:49], v[18:19], v[22:23]
	;; [unrolled: 1-line block ×3, first 2 shown]
	v_add_f64_e64 v[42:43], v[40:41], -v[8:9]
	v_add_f64_e32 v[10:11], v[16:17], v[20:21]
	v_add_f64_e64 v[8:9], v[22:23], -v[18:19]
	v_add_f64_e64 v[44:45], v[58:59], -v[4:5]
	v_add_f64_e32 v[40:41], v[4:5], v[58:59]
	v_add_f64_e64 v[4:5], v[14:15], -v[56:57]
	s_wait_loadcnt 0x0
	v_mad_u16 v12, 0x15e, v12, v13
	s_delay_alu instid0(VALU_DEP_1) | instskip(NEXT) | instid1(VALU_DEP_1)
	v_and_b32_e32 v12, 0xffff, v12
	v_lshlrev_b32_e32 v12, 4, v12
	ds_store_b128 v12, v[0:3]
	ds_store_b128 v12, v[52:55] offset:800
	ds_store_b128 v12, v[48:51] offset:1600
	;; [unrolled: 1-line block ×6, first 2 shown]
.LBB0_9:
	s_wait_alu 0xfffe
	s_or_b32 exec_lo, exec_lo, s26
	global_wb scope:SCOPE_SE
	s_wait_dscnt 0x0
	s_barrier_signal -1
	s_barrier_wait -1
	global_inv scope:SCOPE_SE
	ds_load_b128 v[0:3], v204 offset:5600
	ds_load_b128 v[4:7], v204 offset:11200
	;; [unrolled: 1-line block ×8, first 2 shown]
	s_mov_b32 s2, 0x134454ff
	s_mov_b32 s3, 0xbfee6f0e
	;; [unrolled: 1-line block ×3, first 2 shown]
	s_wait_alu 0xfffe
	s_mov_b32 s8, s2
	s_wait_dscnt 0x7
	v_mul_f64_e32 v[12:13], v[154:155], v[2:3]
	s_wait_dscnt 0x6
	v_mul_f64_e32 v[16:17], v[162:163], v[6:7]
	v_mul_f64_e32 v[18:19], v[162:163], v[4:5]
	s_wait_dscnt 0x5
	v_mul_f64_e32 v[20:21], v[174:175], v[10:11]
	;; [unrolled: 3-line block ×4, first 2 shown]
	s_wait_dscnt 0x2
	v_mul_f64_e32 v[66:67], v[182:183], v[50:51]
	v_mul_f64_e32 v[68:69], v[182:183], v[48:49]
	s_wait_dscnt 0x1
	v_mul_f64_e32 v[70:71], v[190:191], v[54:55]
	v_mul_f64_e32 v[74:75], v[190:191], v[52:53]
	;; [unrolled: 1-line block ×3, first 2 shown]
	s_wait_dscnt 0x0
	v_mul_f64_e32 v[72:73], v[186:187], v[58:59]
	v_mul_f64_e32 v[76:77], v[178:179], v[44:45]
	;; [unrolled: 1-line block ×3, first 2 shown]
	v_fma_f64 v[12:13], v[152:153], v[0:1], v[12:13]
	v_fma_f64 v[16:17], v[160:161], v[4:5], v[16:17]
	v_fma_f64 v[18:19], v[160:161], v[6:7], -v[18:19]
	v_fma_f64 v[8:9], v[172:173], v[8:9], v[20:21]
	v_fma_f64 v[10:11], v[172:173], v[10:11], -v[22:23]
	;; [unrolled: 2-line block ×3, first 2 shown]
	v_fma_f64 v[40:41], v[176:177], v[44:45], v[64:65]
	v_fma_f64 v[42:43], v[180:181], v[48:49], v[66:67]
	v_fma_f64 v[44:45], v[180:181], v[50:51], -v[68:69]
	v_fma_f64 v[48:49], v[188:189], v[52:53], v[70:71]
	v_fma_f64 v[52:53], v[188:189], v[54:55], -v[74:75]
	v_fma_f64 v[14:15], v[152:153], v[2:3], -v[14:15]
	v_fma_f64 v[50:51], v[184:185], v[56:57], v[72:73]
	v_fma_f64 v[46:47], v[176:177], v[46:47], -v[76:77]
	v_fma_f64 v[54:55], v[184:185], v[58:59], -v[78:79]
	ds_load_b128 v[0:3], v204
	ds_load_b128 v[4:7], v204 offset:2800
	s_wait_dscnt 0x1
	v_add_f64_e32 v[72:73], v[0:1], v[12:13]
	v_add_f64_e32 v[56:57], v[16:17], v[8:9]
	;; [unrolled: 1-line block ×4, first 2 shown]
	v_add_f64_e64 v[80:81], v[12:13], -v[20:21]
	s_wait_dscnt 0x0
	v_add_f64_e32 v[84:85], v[4:5], v[40:41]
	v_add_f64_e64 v[76:77], v[18:19], -v[10:11]
	v_add_f64_e64 v[82:83], v[16:17], -v[8:9]
	v_add_f64_e32 v[64:65], v[42:43], v[48:49]
	v_add_f64_e32 v[68:69], v[44:45], v[52:53]
	;; [unrolled: 1-line block ×7, first 2 shown]
	v_add_f64_e64 v[74:75], v[14:15], -v[22:23]
	v_add_f64_e64 v[88:89], v[46:47], -v[54:55]
	;; [unrolled: 1-line block ×16, first 2 shown]
	v_fma_f64 v[56:57], v[56:57], -0.5, v[0:1]
	v_fma_f64 v[60:61], v[60:61], -0.5, v[2:3]
	v_fma_f64 v[0:1], v[58:59], -0.5, v[0:1]
	v_add_f64_e64 v[58:59], v[44:45], -v[52:53]
	v_fma_f64 v[64:65], v[64:65], -0.5, v[4:5]
	v_fma_f64 v[68:69], v[68:69], -0.5, v[6:7]
	;; [unrolled: 1-line block ×3, first 2 shown]
	v_add_f64_e64 v[62:63], v[42:43], -v[48:49]
	v_fma_f64 v[4:5], v[66:67], -0.5, v[4:5]
	v_fma_f64 v[6:7], v[70:71], -0.5, v[6:7]
	v_add_f64_e64 v[66:67], v[12:13], -v[16:17]
	v_add_f64_e64 v[12:13], v[16:17], -v[12:13]
	v_add_f64_e32 v[16:17], v[72:73], v[16:17]
	v_add_f64_e32 v[18:19], v[78:79], v[18:19]
	;; [unrolled: 1-line block ×4, first 2 shown]
	v_add_f64_e64 v[70:71], v[20:21], -v[8:9]
	v_add_f64_e32 v[14:15], v[14:15], v[98:99]
	v_add_f64_e32 v[98:99], v[46:47], v[110:111]
	v_fma_f64 v[72:73], v[74:75], s[2:3], v[56:57]
	s_wait_alu 0xfffe
	v_fma_f64 v[84:85], v[80:81], s[8:9], v[60:61]
	v_fma_f64 v[56:57], v[74:75], s[8:9], v[56:57]
	;; [unrolled: 1-line block ×15, first 2 shown]
	s_mov_b32 s2, 0x4755a5e
	s_mov_b32 s3, 0xbfe2cf23
	;; [unrolled: 1-line block ×3, first 2 shown]
	s_wait_alu 0xfffe
	s_mov_b32 s8, s2
	v_add_f64_e32 v[8:9], v[16:17], v[8:9]
	v_add_f64_e32 v[10:11], v[18:19], v[10:11]
	;; [unrolled: 1-line block ×10, first 2 shown]
	v_fma_f64 v[40:41], v[76:77], s[2:3], v[72:73]
	s_wait_alu 0xfffe
	v_fma_f64 v[52:53], v[82:83], s[8:9], v[84:85]
	v_fma_f64 v[42:43], v[76:77], s[8:9], v[56:57]
	;; [unrolled: 1-line block ×15, first 2 shown]
	s_mov_b32 s2, 0x372fe950
	s_mov_b32 s3, 0x3fd3c6ef
	v_add_f64_e32 v[0:1], v[8:9], v[20:21]
	v_add_f64_e32 v[2:3], v[10:11], v[22:23]
	v_add_f64_e32 v[4:5], v[16:17], v[50:51]
	v_add_f64_e32 v[6:7], v[18:19], v[54:55]
	s_wait_alu 0xfffe
	v_fma_f64 v[8:9], v[66:67], s[2:3], v[40:41]
	v_fma_f64 v[10:11], v[70:71], s[2:3], v[52:53]
	;; [unrolled: 1-line block ×16, first 2 shown]
	v_mad_co_u64_u32 v[14:15], null, s4, v255, 0
	s_mul_u64 s[2:3], s[4:5], 0x36b0
	ds_store_b128 v204, v[0:3]
	ds_store_b128 v204, v[4:7] offset:2800
	ds_store_b128 v204, v[8:11] offset:5600
	;; [unrolled: 1-line block ×9, first 2 shown]
	global_wb scope:SCOPE_SE
	s_wait_dscnt 0x0
	s_barrier_signal -1
	s_barrier_wait -1
	global_inv scope:SCOPE_SE
	ds_load_b128 v[0:3], v204
	ds_load_b128 v[4:7], v204 offset:14000
	scratch_load_b64 v[8:9], off, off th:TH_LOAD_LU ; 8-byte Folded Reload
	s_wait_loadcnt 0x0
	v_mov_b32_e32 v16, v8
	ds_load_b128 v[8:11], v204 offset:2800
	ds_load_b128 v[40:43], v204 offset:16800
	;; [unrolled: 1-line block ×8, first 2 shown]
	s_clause 0x1
	scratch_load_b128 v[100:103], off, off offset:24 th:TH_LOAD_LU
	scratch_load_b128 v[96:99], off, off offset:8 th:TH_LOAD_LU
	v_mad_co_u64_u32 v[12:13], null, s6, v16, 0
	scratch_load_b128 v[110:113], off, off offset:88 th:TH_LOAD_LU ; 16-byte Folded Reload
	v_mad_co_u64_u32 v[16:17], null, s7, v16, v[13:14]
	s_wait_dscnt 0x3
	v_mul_f64_e32 v[86:87], v[26:27], v[54:55]
	v_mul_f64_e32 v[26:27], v[26:27], v[52:53]
	s_wait_dscnt 0x2
	v_mul_f64_e32 v[88:89], v[30:31], v[58:59]
	v_mul_f64_e32 v[30:31], v[30:31], v[56:57]
	;; [unrolled: 3-line block ×4, first 2 shown]
	v_mov_b32_e32 v13, v16
	v_mad_co_u64_u32 v[94:95], null, s5, v255, v[15:16]
	s_delay_alu instid0(VALU_DEP_2) | instskip(NEXT) | instid1(VALU_DEP_2)
	v_lshlrev_b64_e32 v[12:13], 4, v[12:13]
	v_mov_b32_e32 v15, v94
	s_delay_alu instid0(VALU_DEP_2) | instskip(SKIP_1) | instid1(VALU_DEP_3)
	v_add_co_u32 v94, vcc_lo, s0, v12
	s_wait_alu 0xfffd
	v_add_co_ci_u32_e32 v95, vcc_lo, s1, v13, vcc_lo
	s_delay_alu instid0(VALU_DEP_3)
	v_lshlrev_b64_e32 v[14:15], 4, v[14:15]
	s_movk_i32 s0, 0xd440
	s_mov_b32 s1, -1
	s_wait_alu 0xfffe
	s_mul_u64 s[0:1], s[4:5], s[0:1]
	s_mov_b32 s4, 0x835d548e
	s_mov_b32 s5, 0x3f42b97d
	v_fma_f64 v[26:27], v[24:25], v[54:55], -v[26:27]
	v_fma_f64 v[30:31], v[28:29], v[58:59], -v[30:31]
	;; [unrolled: 1-line block ×4, first 2 shown]
	s_wait_alu 0xfffe
	s_delay_alu instid0(VALU_DEP_4) | instskip(NEXT) | instid1(VALU_DEP_4)
	v_mul_f64_e32 v[26:27], s[4:5], v[26:27]
	v_mul_f64_e32 v[30:31], s[4:5], v[30:31]
	s_delay_alu instid0(VALU_DEP_4) | instskip(NEXT) | instid1(VALU_DEP_4)
	v_mul_f64_e32 v[34:35], s[4:5], v[34:35]
	v_mul_f64_e32 v[38:39], s[4:5], v[38:39]
	s_wait_loadcnt 0x2
	v_mul_f64_e32 v[17:18], v[102:103], v[2:3]
	v_mul_f64_e32 v[19:20], v[102:103], v[0:1]
	scratch_load_b128 v[102:105], off, off offset:40 th:TH_LOAD_LU ; 16-byte Folded Reload
	s_wait_loadcnt 0x2
	v_mul_f64_e32 v[21:22], v[98:99], v[6:7]
	v_mul_f64_e32 v[68:69], v[98:99], v[4:5]
	s_wait_loadcnt 0x1
	v_mul_f64_e32 v[78:79], v[112:113], v[46:47]
	v_mul_f64_e32 v[80:81], v[112:113], v[44:45]
	v_fma_f64 v[0:1], v[100:101], v[0:1], v[17:18]
	v_fma_f64 v[2:3], v[100:101], v[2:3], -v[19:20]
	v_fma_f64 v[4:5], v[96:97], v[4:5], v[21:22]
	v_fma_f64 v[6:7], v[96:97], v[6:7], -v[68:69]
	;; [unrolled: 2-line block ×3, first 2 shown]
	v_fma_f64 v[44:45], v[28:29], v[56:57], v[88:89]
	v_fma_f64 v[46:47], v[32:33], v[60:61], v[90:91]
	v_mul_f64_e32 v[0:1], s[4:5], v[0:1]
	v_mul_f64_e32 v[2:3], s[4:5], v[2:3]
	v_mul_f64_e32 v[4:5], s[4:5], v[4:5]
	v_mul_f64_e32 v[6:7], s[4:5], v[6:7]
	v_mul_f64_e32 v[28:29], s[4:5], v[44:45]
	v_mul_f64_e32 v[32:33], s[4:5], v[46:47]
	s_wait_loadcnt 0x0
	v_mul_f64_e32 v[70:71], v[104:105], v[10:11]
	v_mul_f64_e32 v[72:73], v[104:105], v[8:9]
	scratch_load_b128 v[104:107], off, off offset:56 th:TH_LOAD_LU ; 16-byte Folded Reload
	v_fma_f64 v[8:9], v[102:103], v[8:9], v[70:71]
	v_fma_f64 v[10:11], v[102:103], v[10:11], -v[72:73]
	s_delay_alu instid0(VALU_DEP_2) | instskip(NEXT) | instid1(VALU_DEP_2)
	v_mul_f64_e32 v[8:9], s[4:5], v[8:9]
	v_mul_f64_e32 v[10:11], s[4:5], v[10:11]
	s_wait_loadcnt 0x0
	v_mul_f64_e32 v[74:75], v[106:107], v[42:43]
	v_mul_f64_e32 v[76:77], v[106:107], v[40:41]
	scratch_load_b128 v[106:109], off, off offset:72 th:TH_LOAD_LU ; 16-byte Folded Reload
	v_fma_f64 v[12:13], v[104:105], v[40:41], v[74:75]
	v_fma_f64 v[16:17], v[104:105], v[42:43], -v[76:77]
	v_fma_f64 v[42:43], v[24:25], v[52:53], v[86:87]
	s_delay_alu instid0(VALU_DEP_3) | instskip(NEXT) | instid1(VALU_DEP_2)
	v_mul_f64_e32 v[12:13], s[4:5], v[12:13]
	v_mul_f64_e32 v[24:25], s[4:5], v[42:43]
	s_wait_loadcnt 0x0
	v_mul_f64_e32 v[82:83], v[108:109], v[50:51]
	v_mul_f64_e32 v[84:85], v[108:109], v[48:49]
	s_delay_alu instid0(VALU_DEP_2) | instskip(NEXT) | instid1(VALU_DEP_2)
	v_fma_f64 v[22:23], v[106:107], v[48:49], v[82:83]
	v_fma_f64 v[40:41], v[106:107], v[50:51], -v[84:85]
	v_fma_f64 v[48:49], v[36:37], v[64:65], v[92:93]
	v_add_co_u32 v50, vcc_lo, v94, v14
	s_wait_alu 0xfffd
	v_add_co_ci_u32_e32 v51, vcc_lo, v95, v15, vcc_lo
	v_mul_f64_e32 v[14:15], s[4:5], v[16:17]
	s_delay_alu instid0(VALU_DEP_3) | instskip(SKIP_1) | instid1(VALU_DEP_3)
	v_add_co_u32 v52, vcc_lo, v50, s2
	s_wait_alu 0xfffd
	v_add_co_ci_u32_e32 v53, vcc_lo, s3, v51, vcc_lo
	v_mul_f64_e32 v[16:17], s[4:5], v[18:19]
	s_delay_alu instid0(VALU_DEP_3) | instskip(SKIP_1) | instid1(VALU_DEP_3)
	;; [unrolled: 5-line block ×3, first 2 shown]
	v_add_co_u32 v56, vcc_lo, v54, s2
	s_wait_alu 0xfffd
	v_add_co_ci_u32_e32 v57, vcc_lo, s3, v55, vcc_lo
	v_mul_f64_e32 v[20:21], s[4:5], v[22:23]
	v_mul_f64_e32 v[22:23], s[4:5], v[40:41]
	;; [unrolled: 1-line block ×3, first 2 shown]
	v_add_co_u32 v40, vcc_lo, v56, s0
	s_wait_alu 0xfffd
	v_add_co_ci_u32_e32 v41, vcc_lo, s1, v57, vcc_lo
	s_delay_alu instid0(VALU_DEP_2) | instskip(SKIP_1) | instid1(VALU_DEP_2)
	v_add_co_u32 v42, vcc_lo, v40, s2
	s_wait_alu 0xfffd
	v_add_co_ci_u32_e32 v43, vcc_lo, s3, v41, vcc_lo
	s_delay_alu instid0(VALU_DEP_2) | instskip(SKIP_1) | instid1(VALU_DEP_2)
	;; [unrolled: 4-line block ×5, first 2 shown]
	v_add_co_u32 v58, vcc_lo, v48, s2
	s_wait_alu 0xfffd
	v_add_co_ci_u32_e32 v59, vcc_lo, s3, v49, vcc_lo
	s_clause 0x4
	global_store_b128 v[50:51], v[0:3], off
	global_store_b128 v[52:53], v[4:7], off
	;; [unrolled: 1-line block ×10, first 2 shown]
.LBB0_10:
	s_nop 0
	s_sendmsg sendmsg(MSG_DEALLOC_VGPRS)
	s_endpgm
	.section	.rodata,"a",@progbits
	.p2align	6, 0x0
	.amdhsa_kernel bluestein_single_fwd_len1750_dim1_dp_op_CI_CI
		.amdhsa_group_segment_fixed_size 28000
		.amdhsa_private_segment_fixed_size 132
		.amdhsa_kernarg_size 104
		.amdhsa_user_sgpr_count 2
		.amdhsa_user_sgpr_dispatch_ptr 0
		.amdhsa_user_sgpr_queue_ptr 0
		.amdhsa_user_sgpr_kernarg_segment_ptr 1
		.amdhsa_user_sgpr_dispatch_id 0
		.amdhsa_user_sgpr_private_segment_size 0
		.amdhsa_wavefront_size32 1
		.amdhsa_uses_dynamic_stack 0
		.amdhsa_enable_private_segment 1
		.amdhsa_system_sgpr_workgroup_id_x 1
		.amdhsa_system_sgpr_workgroup_id_y 0
		.amdhsa_system_sgpr_workgroup_id_z 0
		.amdhsa_system_sgpr_workgroup_info 0
		.amdhsa_system_vgpr_workitem_id 0
		.amdhsa_next_free_vgpr 256
		.amdhsa_next_free_sgpr 30
		.amdhsa_reserve_vcc 1
		.amdhsa_float_round_mode_32 0
		.amdhsa_float_round_mode_16_64 0
		.amdhsa_float_denorm_mode_32 3
		.amdhsa_float_denorm_mode_16_64 3
		.amdhsa_fp16_overflow 0
		.amdhsa_workgroup_processor_mode 1
		.amdhsa_memory_ordered 1
		.amdhsa_forward_progress 0
		.amdhsa_round_robin_scheduling 0
		.amdhsa_exception_fp_ieee_invalid_op 0
		.amdhsa_exception_fp_denorm_src 0
		.amdhsa_exception_fp_ieee_div_zero 0
		.amdhsa_exception_fp_ieee_overflow 0
		.amdhsa_exception_fp_ieee_underflow 0
		.amdhsa_exception_fp_ieee_inexact 0
		.amdhsa_exception_int_div_zero 0
	.end_amdhsa_kernel
	.text
.Lfunc_end0:
	.size	bluestein_single_fwd_len1750_dim1_dp_op_CI_CI, .Lfunc_end0-bluestein_single_fwd_len1750_dim1_dp_op_CI_CI
                                        ; -- End function
	.section	.AMDGPU.csdata,"",@progbits
; Kernel info:
; codeLenInByte = 16436
; NumSgprs: 32
; NumVgprs: 256
; ScratchSize: 132
; MemoryBound: 0
; FloatMode: 240
; IeeeMode: 1
; LDSByteSize: 28000 bytes/workgroup (compile time only)
; SGPRBlocks: 3
; VGPRBlocks: 31
; NumSGPRsForWavesPerEU: 32
; NumVGPRsForWavesPerEU: 256
; Occupancy: 5
; WaveLimiterHint : 1
; COMPUTE_PGM_RSRC2:SCRATCH_EN: 1
; COMPUTE_PGM_RSRC2:USER_SGPR: 2
; COMPUTE_PGM_RSRC2:TRAP_HANDLER: 0
; COMPUTE_PGM_RSRC2:TGID_X_EN: 1
; COMPUTE_PGM_RSRC2:TGID_Y_EN: 0
; COMPUTE_PGM_RSRC2:TGID_Z_EN: 0
; COMPUTE_PGM_RSRC2:TIDIG_COMP_CNT: 0
	.text
	.p2alignl 7, 3214868480
	.fill 96, 4, 3214868480
	.type	__hip_cuid_616a6705e8e961e2,@object ; @__hip_cuid_616a6705e8e961e2
	.section	.bss,"aw",@nobits
	.globl	__hip_cuid_616a6705e8e961e2
__hip_cuid_616a6705e8e961e2:
	.byte	0                               ; 0x0
	.size	__hip_cuid_616a6705e8e961e2, 1

	.ident	"AMD clang version 19.0.0git (https://github.com/RadeonOpenCompute/llvm-project roc-6.4.0 25133 c7fe45cf4b819c5991fe208aaa96edf142730f1d)"
	.section	".note.GNU-stack","",@progbits
	.addrsig
	.addrsig_sym __hip_cuid_616a6705e8e961e2
	.amdgpu_metadata
---
amdhsa.kernels:
  - .args:
      - .actual_access:  read_only
        .address_space:  global
        .offset:         0
        .size:           8
        .value_kind:     global_buffer
      - .actual_access:  read_only
        .address_space:  global
        .offset:         8
        .size:           8
        .value_kind:     global_buffer
      - .actual_access:  read_only
        .address_space:  global
        .offset:         16
        .size:           8
        .value_kind:     global_buffer
      - .actual_access:  read_only
        .address_space:  global
        .offset:         24
        .size:           8
        .value_kind:     global_buffer
      - .actual_access:  read_only
        .address_space:  global
        .offset:         32
        .size:           8
        .value_kind:     global_buffer
      - .offset:         40
        .size:           8
        .value_kind:     by_value
      - .address_space:  global
        .offset:         48
        .size:           8
        .value_kind:     global_buffer
      - .address_space:  global
        .offset:         56
        .size:           8
        .value_kind:     global_buffer
      - .address_space:  global
        .offset:         64
        .size:           8
        .value_kind:     global_buffer
      - .address_space:  global
        .offset:         72
        .size:           8
        .value_kind:     global_buffer
      - .offset:         80
        .size:           4
        .value_kind:     by_value
      - .address_space:  global
        .offset:         88
        .size:           8
        .value_kind:     global_buffer
      - .address_space:  global
        .offset:         96
        .size:           8
        .value_kind:     global_buffer
    .group_segment_fixed_size: 28000
    .kernarg_segment_align: 8
    .kernarg_segment_size: 104
    .language:       OpenCL C
    .language_version:
      - 2
      - 0
    .max_flat_workgroup_size: 175
    .name:           bluestein_single_fwd_len1750_dim1_dp_op_CI_CI
    .private_segment_fixed_size: 132
    .sgpr_count:     32
    .sgpr_spill_count: 0
    .symbol:         bluestein_single_fwd_len1750_dim1_dp_op_CI_CI.kd
    .uniform_work_group_size: 1
    .uses_dynamic_stack: false
    .vgpr_count:     256
    .vgpr_spill_count: 32
    .wavefront_size: 32
    .workgroup_processor_mode: 1
amdhsa.target:   amdgcn-amd-amdhsa--gfx1201
amdhsa.version:
  - 1
  - 2
...

	.end_amdgpu_metadata
